;; amdgpu-corpus repo=ROCm/rocFFT kind=compiled arch=gfx1030 opt=O3
	.text
	.amdgcn_target "amdgcn-amd-amdhsa--gfx1030"
	.amdhsa_code_object_version 6
	.protected	bluestein_single_back_len3750_dim1_sp_op_CI_CI ; -- Begin function bluestein_single_back_len3750_dim1_sp_op_CI_CI
	.globl	bluestein_single_back_len3750_dim1_sp_op_CI_CI
	.p2align	8
	.type	bluestein_single_back_len3750_dim1_sp_op_CI_CI,@function
bluestein_single_back_len3750_dim1_sp_op_CI_CI: ; @bluestein_single_back_len3750_dim1_sp_op_CI_CI
; %bb.0:
	s_load_dwordx4 s[12:15], s[4:5], 0x28
	v_mul_u32_u24_e32 v1, 0x20d, v0
	s_mov_b64 s[22:23], s[2:3]
	s_mov_b64 s[20:21], s[0:1]
	v_mov_b32_e32 v3, 0
	s_add_u32 s20, s20, s7
	v_lshrrev_b32_e32 v1, 16, v1
	s_addc_u32 s21, s21, 0
	s_mov_b32 s0, exec_lo
	v_add_nc_u32_e32 v2, s6, v1
	s_waitcnt lgkmcnt(0)
	v_cmpx_gt_u64_e64 s[12:13], v[2:3]
	s_cbranch_execz .LBB0_2
; %bb.1:
	s_clause 0x1
	s_load_dwordx4 s[0:3], s[4:5], 0x18
	s_load_dwordx4 s[8:11], s[4:5], 0x0
	v_mov_b32_e32 v4, v2
	v_mul_lo_u16 v1, 0x7d, v1
	v_mov_b32_e32 v211, 3
	s_load_dwordx2 s[4:5], s[4:5], 0x38
	v_sub_nc_u16 v170, v0, v1
	v_and_b32_e32 v96, 0xffff, v170
	v_lshlrev_b32_e32 v192, 3, v96
	v_add_co_u32 v160, null, 0xfa, v96
	s_waitcnt lgkmcnt(0)
	s_load_dwordx4 s[16:19], s[0:1], 0x0
	buffer_store_dword v4, off, s[20:23], 0 ; 4-byte Folded Spill
	buffer_store_dword v5, off, s[20:23], 0 offset:4 ; 4-byte Folded Spill
	v_add_co_u32 v36, s0, s8, v192
	v_add_co_ci_u32_e64 v58, null, s9, 0, s0
	global_load_dwordx2 v[81:82], v192, s[8:9]
	v_add_co_u32 v8, vcc_lo, 0x2000, v36
	v_add_co_ci_u32_e32 v9, vcc_lo, 0, v58, vcc_lo
	v_add_co_u32 v10, vcc_lo, 0x4800, v36
	v_add_co_ci_u32_e32 v11, vcc_lo, 0, v58, vcc_lo
	v_add_nc_u32_e32 v217, 0x400, v192
	v_add_nc_u32_e32 v124, 0x5400, v192
	;; [unrolled: 1-line block ×3, first 2 shown]
	v_add_co_u32 v172, null, 0x177, v96
	s_waitcnt lgkmcnt(0)
	v_mad_u64_u32 v[0:1], null, s18, v2, 0
	v_mad_u64_u32 v[2:3], null, s16, v96, 0
	s_mul_i32 s1, s17, 0x2710
	s_mul_hi_u32 s6, s16, 0x2710
	s_mul_i32 s0, s16, 0x2710
	s_add_i32 s1, s6, s1
	s_mul_hi_u32 s6, s16, 0xffffb5c8
	s_mul_i32 s12, s17, 0xffffb5c8
	s_sub_i32 s6, s6, s16
	s_mul_i32 s7, s16, 0xffffb5c8
	s_add_i32 s6, s6, s12
	v_add_co_u32 v212, null, 0x1f4, v96
	v_add_co_u32 v223, null, 0x271, v96
	v_mad_u64_u32 v[4:5], null, s19, v4, v[1:2]
	v_mad_u64_u32 v[5:6], null, s17, v96, v[3:4]
	v_mov_b32_e32 v1, v4
	v_lshlrev_b64 v[0:1], 3, v[0:1]
	v_mov_b32_e32 v3, v5
	v_add_co_u32 v0, vcc_lo, s14, v0
	v_lshlrev_b64 v[2:3], 3, v[2:3]
	v_add_co_ci_u32_e32 v1, vcc_lo, s15, v1, vcc_lo
	v_add_co_u32 v0, vcc_lo, v0, v2
	v_add_co_ci_u32_e32 v1, vcc_lo, v1, v3, vcc_lo
	v_add_co_u32 v4, vcc_lo, v0, s0
	v_add_co_ci_u32_e32 v5, vcc_lo, s1, v1, vcc_lo
	global_load_dwordx2 v[67:68], v[8:9], off offset:1808
	global_load_dwordx2 v[0:1], v[0:1], off
	global_load_dwordx2 v[63:64], v[10:11], off offset:1568
	global_load_dwordx2 v[2:3], v[4:5], off
	v_add_co_u32 v4, vcc_lo, v4, s0
	v_add_co_ci_u32_e32 v5, vcc_lo, s1, v5, vcc_lo
	v_add_co_u32 v12, vcc_lo, v4, s7
	v_add_co_ci_u32_e32 v13, vcc_lo, s6, v5, vcc_lo
	;; [unrolled: 2-line block ×14, first 2 shown]
	s_clause 0x1
	global_load_dwordx2 v[6:7], v[4:5], off
	global_load_dwordx2 v[4:5], v[12:13], off
	s_clause 0x18
	global_load_dwordx2 v[73:74], v192, s[8:9] offset:1000
	global_load_dwordx2 v[65:66], v192, s[8:9] offset:2000
	global_load_dwordx2 v[117:118], v[14:15], off offset:760
	global_load_dwordx2 v[109:110], v[14:15], off offset:1760
	;; [unrolled: 1-line block ×23, first 2 shown]
	v_add_co_u32 v8, vcc_lo, v12, s0
	v_add_co_ci_u32_e32 v9, vcc_lo, s1, v13, vcc_lo
	global_load_dwordx2 v[61:62], v[10:11], off offset:568
	v_add_co_u32 v10, vcc_lo, v8, s0
	v_add_co_ci_u32_e32 v11, vcc_lo, s1, v9, vcc_lo
	global_load_dwordx2 v[8:9], v[8:9], off
	v_add_co_u32 v12, vcc_lo, v10, s7
	v_add_co_ci_u32_e32 v13, vcc_lo, s6, v11, vcc_lo
	global_load_dwordx2 v[10:11], v[10:11], off
	;; [unrolled: 3-line block ×19, first 2 shown]
	v_add_co_u32 v50, vcc_lo, v48, s7
	s_waitcnt vmcnt(51)
	buffer_store_dword v81, off, s[20:23], 0 offset:240 ; 4-byte Folded Spill
	buffer_store_dword v82, off, s[20:23], 0 offset:244 ; 4-byte Folded Spill
	v_add_co_ci_u32_e32 v51, vcc_lo, s6, v49, vcc_lo
	global_load_dwordx2 v[48:49], v[48:49], off
	v_add_co_u32 v56, vcc_lo, v50, s0
	v_add_co_ci_u32_e32 v57, vcc_lo, s1, v51, vcc_lo
	s_waitcnt vmcnt(51)
	buffer_store_dword v67, off, s[20:23], 0 offset:216 ; 4-byte Folded Spill
	buffer_store_dword v68, off, s[20:23], 0 offset:220 ; 4-byte Folded Spill
	global_load_dwordx2 v[50:51], v[50:51], off
	s_waitcnt vmcnt(50)
	buffer_store_dword v63, off, s[20:23], 0 offset:176 ; 4-byte Folded Spill
	buffer_store_dword v64, off, s[20:23], 0 offset:180 ; 4-byte Folded Spill
	v_mul_f32_e32 v52, v1, v82
	v_mul_f32_e32 v39, v0, v82
	v_fmac_f32_e32 v52, v0, v81
	v_fma_f32 v53, v1, v81, -v39
	v_add_nc_u32_e32 v39, 0x5000, v192
	s_waitcnt vmcnt(49)
	v_mul_f32_e32 v54, v3, v68
	v_mul_f32_e32 v55, v2, v68
	s_waitcnt vmcnt(48)
	v_mul_f32_e32 v0, v7, v64
	v_mul_f32_e32 v1, v6, v64
	v_add_nc_u32_e32 v64, 0x5800, v192
	v_fmac_f32_e32 v54, v2, v67
	v_add_co_u32 v2, vcc_lo, v56, s0
	v_fma_f32 v55, v3, v67, -v55
	v_add_co_ci_u32_e32 v3, vcc_lo, s1, v57, vcc_lo
	global_load_dwordx2 v[56:57], v[56:57], off
	s_waitcnt vmcnt(47)
	buffer_store_dword v73, off, s[20:23], 0 offset:232 ; 4-byte Folded Spill
	buffer_store_dword v74, off, s[20:23], 0 offset:236 ; 4-byte Folded Spill
	v_fmac_f32_e32 v0, v6, v63
	ds_write_b64 v192, v[54:55] offset:10000
	v_add_co_u32 v54, vcc_lo, v2, s7
	v_fma_f32 v1, v7, v63, -v1
	v_add_co_ci_u32_e32 v55, vcc_lo, s6, v3, vcc_lo
	global_load_dwordx2 v[2:3], v[2:3], off
	v_add_nc_u32_e32 v63, 0x3800, v192
	ds_write_b64 v192, v[0:1] offset:20000
	v_mul_f32_e32 v6, v5, v74
	v_mul_f32_e32 v7, v4, v74
	v_fmac_f32_e32 v6, v4, v73
	v_add_co_u32 v4, vcc_lo, v54, s0
	v_fma_f32 v7, v5, v73, -v7
	v_add_co_ci_u32_e32 v5, vcc_lo, s1, v55, vcc_lo
	v_add_co_u32 v0, vcc_lo, v4, s0
	ds_write2_b64 v192, v[52:53], v[6:7] offset1:125
	v_add_co_ci_u32_e32 v1, vcc_lo, s1, v5, vcc_lo
	global_load_dwordx2 v[54:55], v[54:55], off
	global_load_dwordx2 v[4:5], v[4:5], off
	global_load_dwordx2 v[52:53], v[253:254], off offset:328
	global_load_dwordx2 v[0:1], v[0:1], off
	s_waitcnt vmcnt(50)
	buffer_store_dword v117, off, s[20:23], 0 offset:224 ; 4-byte Folded Spill
	buffer_store_dword v118, off, s[20:23], 0 offset:228 ; 4-byte Folded Spill
	s_waitcnt vmcnt(49)
	buffer_store_dword v109, off, s[20:23], 0 offset:168 ; 4-byte Folded Spill
	buffer_store_dword v110, off, s[20:23], 0 offset:172 ; 4-byte Folded Spill
	;; [unrolled: 3-line block ×3, first 2 shown]
	v_cmp_gt_u16_e32 vcc_lo, 0x4b, v170
	s_waitcnt vmcnt(26)
	v_mul_f32_e32 v7, v8, v118
	v_mul_f32_e32 v6, v9, v118
	v_fma_f32 v7, v9, v117, -v7
	s_waitcnt vmcnt(23)
	v_mul_f32_e32 v9, v14, v110
	v_fmac_f32_e32 v6, v8, v117
	v_mul_f32_e32 v8, v15, v110
	v_fma_f32 v9, v15, v109, -v9
	v_add_nc_u32_e32 v15, 0x2800, v192
	v_fmac_f32_e32 v8, v14, v109
	v_mul_f32_e32 v14, v11, v116
	ds_write2_b64 v15, v[6:7], v[8:9] offset0:95 offset1:220
	buffer_store_dword v65, off, s[20:23], 0 offset:184 ; 4-byte Folded Spill
	buffer_store_dword v66, off, s[20:23], 0 offset:188 ; 4-byte Folded Spill
	;; [unrolled: 1-line block ×6, first 2 shown]
	v_mul_f32_e32 v7, v10, v116
	v_fmac_f32_e32 v14, v10, v115
	v_fma_f32 v15, v11, v115, -v7
	v_mul_f32_e32 v8, v12, v66
	v_mul_f32_e32 v6, v13, v66
	s_waitcnt vmcnt(22)
	v_mul_f32_e32 v9, v16, v106
	s_waitcnt vmcnt(21)
	v_mul_f32_e32 v11, v18, v114
	v_mul_f32_e32 v10, v19, v114
	v_fma_f32 v7, v13, v65, -v8
	v_mul_f32_e32 v8, v17, v106
	v_fmac_f32_e32 v6, v12, v65
	v_fma_f32 v9, v17, v105, -v9
	v_fma_f32 v11, v19, v113, -v11
	v_fmac_f32_e32 v10, v18, v113
	v_fmac_f32_e32 v8, v16, v105
	v_add_nc_u32_e32 v17, 0x3000, v192
	v_add_nc_u32_e32 v16, 0xc00, v192
	;; [unrolled: 1-line block ×4, first 2 shown]
	ds_write2_b64 v39, v[14:15], v[8:9] offset0:65 offset1:190
	buffer_store_dword v111, off, s[20:23], 0 offset:200 ; 4-byte Folded Spill
	buffer_store_dword v112, off, s[20:23], 0 offset:204 ; 4-byte Folded Spill
	ds_write2_b64 v217, v[6:7], v[10:11] offset0:122 offset1:247
	buffer_store_dword v103, off, s[20:23], 0 offset:152 ; 4-byte Folded Spill
	buffer_store_dword v104, off, s[20:23], 0 offset:156 ; 4-byte Folded Spill
	;; [unrolled: 1-line block ×6, first 2 shown]
	s_load_dwordx4 s[0:3], s[2:3], 0x0
	buffer_store_dword v97, off, s[20:23], 0 offset:104 ; 4-byte Folded Spill
	buffer_store_dword v98, off, s[20:23], 0 offset:108 ; 4-byte Folded Spill
	v_add_nc_u32_e32 v39, 0x4000, v192
	s_waitcnt vmcnt(20)
	v_mul_f32_e32 v8, v20, v112
	v_mul_f32_e32 v6, v21, v112
	s_waitcnt vmcnt(19)
	v_mul_f32_e32 v9, v22, v104
	s_waitcnt vmcnt(17)
	v_mul_f32_e32 v10, v27, v100
	v_mul_f32_e32 v11, v26, v100
	v_fma_f32 v7, v21, v111, -v8
	v_fmac_f32_e32 v6, v20, v111
	v_mul_f32_e32 v8, v23, v104
	v_fmac_f32_e32 v10, v26, v99
	v_fma_f32 v11, v27, v99, -v11
	v_mul_f32_e32 v13, v24, v108
	v_mul_f32_e32 v12, v25, v108
	s_waitcnt vmcnt(16)
	v_mul_f32_e32 v14, v28, v98
	v_fma_f32 v9, v23, v103, -v9
	ds_write2_b64 v17, v[6:7], v[10:11] offset0:89 offset1:214
	buffer_store_dword v101, off, s[20:23], 0 offset:144 ; 4-byte Folded Spill
	buffer_store_dword v102, off, s[20:23], 0 offset:148 ; 4-byte Folded Spill
	v_mul_f32_e32 v6, v29, v98
	v_fmac_f32_e32 v8, v22, v103
	v_fma_f32 v13, v25, v107, -v13
	v_fmac_f32_e32 v12, v24, v107
	v_fma_f32 v7, v29, v97, -v14
	v_fmac_f32_e32 v6, v28, v97
	buffer_store_dword v93, off, s[20:23], 0 offset:112 ; 4-byte Folded Spill
	buffer_store_dword v94, off, s[20:23], 0 offset:116 ; 4-byte Folded Spill
	v_mov_b32_e32 v26, v16
	v_add_nc_u32_e32 v20, 0x1c00, v192
	v_add_nc_u32_e32 v21, 0x4c00, v192
	ds_write2_b64 v64, v[8:9], v[6:7] offset0:59 offset1:184
	buffer_store_dword v91, off, s[20:23], 0 offset:128 ; 4-byte Folded Spill
	buffer_store_dword v92, off, s[20:23], 0 offset:132 ; 4-byte Folded Spill
	v_add_nc_u32_e32 v23, 0x6800, v192
	v_add_nc_u32_e32 v22, 0x2400, v192
	v_mov_b32_e32 v27, v20
	v_mov_b32_e32 v98, v21
	;; [unrolled: 1-line block ×6, first 2 shown]
	s_waitcnt vmcnt(15)
	v_mul_f32_e32 v10, v31, v102
	v_mul_f32_e32 v11, v30, v102
	v_fmac_f32_e32 v10, v30, v101
	v_fma_f32 v11, v31, v101, -v11
	s_waitcnt vmcnt(14)
	v_mul_f32_e32 v14, v33, v94
	v_mul_f32_e32 v15, v32, v94
	ds_write2_b64 v16, v[12:13], v[10:11] offset0:116 offset1:241
	buffer_store_dword v89, off, s[20:23], 0 offset:96 ; 4-byte Folded Spill
	buffer_store_dword v90, off, s[20:23], 0 offset:100 ; 4-byte Folded Spill
	;; [unrolled: 1-line block ×8, first 2 shown]
	s_waitcnt vmcnt(13)
	v_mul_f32_e32 v6, v35, v92
	v_mul_f32_e32 v7, v34, v92
	v_fmac_f32_e32 v14, v32, v93
	v_fma_f32 v15, v33, v93, -v15
	v_fmac_f32_e32 v6, v34, v91
	v_fma_f32 v7, v35, v91, -v7
	s_waitcnt vmcnt(12)
	v_mul_f32_e32 v9, v37, v90
	v_mul_f32_e32 v8, v38, v90
	s_waitcnt vmcnt(11)
	v_mul_f32_e32 v10, v41, v88
	v_mul_f32_e32 v11, v40, v88
	s_waitcnt vmcnt(10)
	v_mul_f32_e32 v13, v42, v86
	v_mul_f32_e32 v12, v43, v86
	s_waitcnt vmcnt(9)
	v_mul_f32_e32 v17, v44, v84
	v_mul_f32_e32 v16, v45, v84
	v_fma_f32 v9, v38, v89, -v9
	v_fmac_f32_e32 v8, v37, v89
	v_fmac_f32_e32 v10, v40, v87
	v_fma_f32 v11, v41, v87, -v11
	v_fma_f32 v13, v43, v85, -v13
	v_fmac_f32_e32 v12, v42, v85
	v_fma_f32 v17, v45, v83, -v17
	v_fmac_f32_e32 v16, v44, v83
	ds_write2_b64 v63, v[14:15], v[10:11] offset0:83 offset1:208
	buffer_store_dword v77, off, s[20:23], 0 offset:64 ; 4-byte Folded Spill
	buffer_store_dword v78, off, s[20:23], 0 offset:68 ; 4-byte Folded Spill
	ds_write2_b64 v19, v[6:7], v[12:13] offset0:53 offset1:178
	buffer_store_dword v79, off, s[20:23], 0 offset:56 ; 4-byte Folded Spill
	buffer_store_dword v80, off, s[20:23], 0 offset:60 ; 4-byte Folded Spill
	;; [unrolled: 3-line block ×3, first 2 shown]
	buffer_store_dword v69, off, s[20:23], 0 offset:40 ; 4-byte Folded Spill
	buffer_store_dword v70, off, s[20:23], 0 offset:44 ; 4-byte Folded Spill
	;; [unrolled: 1-line block ×8, first 2 shown]
	s_waitcnt vmcnt(1)
	buffer_store_dword v52, off, s[20:23], 0 offset:8 ; 4-byte Folded Spill
	buffer_store_dword v53, off, s[20:23], 0 offset:12 ; 4-byte Folded Spill
	v_mov_b32_e32 v42, v18
	v_mov_b32_e32 v92, v42
	;; [unrolled: 1-line block ×3, first 2 shown]
	v_mul_f32_e32 v10, v46, v78
	v_mul_f32_e32 v6, v47, v78
	;; [unrolled: 1-line block ×10, first 2 shown]
	v_fma_f32 v15, v3, v71, -v15
	v_fma_f32 v3, v55, v59, -v16
	v_mul_f32_e32 v16, v5, v62
	s_waitcnt vmcnt(0)
	v_mul_f32_e32 v19, v0, v53
	v_mul_f32_e32 v18, v1, v53
	v_fma_f32 v7, v47, v77, -v10
	v_fma_f32 v9, v49, v79, -v11
	v_mul_f32_e32 v11, v50, v76
	v_mul_f32_e32 v10, v51, v76
	v_fmac_f32_e32 v14, v2, v71
	v_mul_f32_e32 v2, v55, v60
	v_fmac_f32_e32 v6, v46, v77
	v_fma_f32 v13, v57, v69, -v13
	v_fmac_f32_e32 v12, v56, v69
	v_fma_f32 v17, v5, v61, -v17
	v_fmac_f32_e32 v16, v4, v61
	v_fmac_f32_e32 v8, v48, v79
	v_fma_f32 v19, v1, v52, -v19
	v_fmac_f32_e32 v18, v0, v52
	v_fma_f32 v11, v51, v75, -v11
	v_fmac_f32_e32 v10, v50, v75
	v_fmac_f32_e32 v2, v54, v59
	ds_write2_b64 v39, v[6:7], v[12:13] offset0:77 offset1:202
	ds_write2_b64 v23, v[8:9], v[14:15] offset0:47 offset1:172
	;; [unrolled: 1-line block ×3, first 2 shown]
	ds_write_b64 v192, v[16:17] offset:19000
	ds_write_b64 v192, v[18:19] offset:29000
	s_waitcnt lgkmcnt(0)
	s_waitcnt_vscnt null, 0x0
	s_barrier
	buffer_gl0_inv
	ds_read2_b64 v[0:3], v192 offset1:125
	ds_read2_b64 v[4:7], v22 offset0:98 offset1:223
	ds_read2_b64 v[8:11], v21 offset0:68 offset1:193
	v_add_nc_u32_e32 v20, 0x2c00, v192
	ds_read2_b64 v[12:15], v217 offset0:122 offset1:247
	ds_read2_b64 v[16:19], v20 offset0:92 offset1:217
	v_mov_b32_e32 v90, v20
	ds_read2_b64 v[20:23], v124 offset0:62 offset1:187
	v_mov_b32_e32 v161, v90
	s_waitcnt lgkmcnt(4)
	v_add_f32_e32 v24, v0, v4
	s_waitcnt lgkmcnt(3)
	v_add_f32_e32 v39, v4, v8
	v_sub_f32_e32 v46, v5, v9
	v_add_f32_e32 v25, v1, v5
	v_add_f32_e32 v47, v5, v9
	v_sub_f32_e32 v48, v4, v8
	v_add_f32_e32 v4, v2, v6
	v_add_f32_e32 v5, v3, v7
	;; [unrolled: 1-line block ×3, first 2 shown]
	v_sub_f32_e32 v50, v7, v11
	v_add_f32_e32 v51, v7, v11
	v_sub_f32_e32 v52, v6, v10
	s_waitcnt lgkmcnt(1)
	v_add_f32_e32 v6, v12, v16
	s_waitcnt lgkmcnt(0)
	v_add_f32_e32 v53, v16, v20
	v_add_f32_e32 v7, v13, v17
	v_sub_f32_e32 v56, v16, v20
	v_add_f32_e32 v30, v4, v10
	v_add_f32_e32 v31, v5, v11
	;; [unrolled: 1-line block ×4, first 2 shown]
	v_add_nc_u32_e32 v16, 0x3400, v192
	v_add_f32_e32 v28, v24, v8
	v_add_f32_e32 v29, v25, v9
	v_add_nc_u32_e32 v24, 0x5c00, v192
	v_add_f32_e32 v32, v6, v20
	v_add_f32_e32 v33, v7, v21
	;; [unrolled: 1-line block ×4, first 2 shown]
	ds_read2_b64 v[4:7], v26 offset0:116 offset1:241
	ds_read2_b64 v[8:11], v16 offset0:86 offset1:211
	v_sub_f32_e32 v54, v17, v21
	v_add_f32_e32 v55, v17, v21
	v_add_f32_e32 v57, v18, v22
	v_sub_f32_e32 v59, v19, v23
	v_add_f32_e32 v60, v19, v23
	v_sub_f32_e32 v61, v18, v22
	v_mov_b32_e32 v109, v16
	ds_read2_b64 v[16:19], v24 offset0:56 offset1:181
	v_add_nc_u32_e32 v25, 0x6400, v192
	v_mov_b32_e32 v91, v24
	v_fma_f32 v0, -0.5, v39, v0
	v_fma_f32 v1, -0.5, v47, v1
	v_add_co_u32 v39, null, 0x7d, v96
	v_mov_b32_e32 v99, v25
	v_fma_f32 v2, -0.5, v49, v2
	v_fmac_f32_e32 v3, -0.5, v51
	v_fma_f32 v14, -0.5, v57, v14
	v_fmac_f32_e32 v15, -0.5, v60
	s_waitcnt lgkmcnt(1)
	v_add_f32_e32 v20, v4, v8
	v_add_f32_e32 v21, v5, v9
	v_mov_b32_e32 v111, v91
	v_mov_b32_e32 v168, v99
	s_waitcnt lgkmcnt(0)
	v_add_f32_e32 v62, v8, v16
	v_sub_f32_e32 v63, v9, v17
	v_add_f32_e32 v64, v9, v17
	v_sub_f32_e32 v65, v8, v16
	v_add_f32_e32 v8, v6, v10
	v_add_f32_e32 v9, v7, v11
	;; [unrolled: 1-line block ×3, first 2 shown]
	v_add_nc_u32_e32 v20, 0x3c00, v192
	v_add_f32_e32 v66, v10, v18
	v_sub_f32_e32 v67, v11, v19
	v_add_f32_e32 v68, v11, v19
	v_sub_f32_e32 v69, v10, v18
	v_add_f32_e32 v38, v21, v17
	v_add_f32_e32 v40, v8, v18
	v_add_f32_e32 v41, v9, v19
	ds_read2_b64 v[8:11], v42 offset0:110 offset1:235
	ds_read2_b64 v[16:19], v20 offset0:80 offset1:205
	v_mov_b32_e32 v163, v20
	ds_read2_b64 v[20:23], v25 offset0:50 offset1:175
	v_fma_f32 v6, -0.5, v66, v6
	v_fmac_f32_e32 v7, -0.5, v68
	s_waitcnt lgkmcnt(1)
	v_add_f32_e32 v24, v8, v16
	v_add_f32_e32 v25, v9, v17
	s_waitcnt lgkmcnt(0)
	v_add_f32_e32 v70, v16, v20
	v_sub_f32_e32 v71, v17, v21
	v_add_f32_e32 v72, v17, v21
	v_sub_f32_e32 v73, v16, v20
	v_add_f32_e32 v16, v10, v18
	v_add_f32_e32 v17, v11, v19
	;; [unrolled: 1-line block ×3, first 2 shown]
	v_add_nc_u32_e32 v24, 0x4400, v192
	v_add_f32_e32 v74, v18, v22
	v_sub_f32_e32 v75, v19, v23
	v_add_f32_e32 v76, v19, v23
	v_sub_f32_e32 v77, v18, v22
	v_add_f32_e32 v43, v25, v21
	v_add_f32_e32 v44, v16, v22
	;; [unrolled: 1-line block ×3, first 2 shown]
	ds_read2_b64 v[16:19], v27 offset0:104 offset1:229
	ds_read2_b64 v[20:23], v24 offset0:74 offset1:199
	v_mov_b32_e32 v89, v24
	ds_read2_b64 v[24:27], v125 offset0:44 offset1:169
	v_fma_f32 v10, -0.5, v74, v10
	v_fmac_f32_e32 v11, -0.5, v76
	v_mov_b32_e32 v127, v89
	s_waitcnt lgkmcnt(1)
	v_add_f32_e32 v78, v16, v20
	v_add_f32_e32 v81, v17, v21
	s_waitcnt lgkmcnt(0)
	v_add_f32_e32 v79, v20, v24
	v_sub_f32_e32 v83, v20, v24
	v_add_f32_e32 v20, v18, v22
	v_sub_f32_e32 v85, v23, v27
	v_add_f32_e32 v86, v23, v27
	v_add_f32_e32 v87, v19, v23
	v_sub_f32_e32 v80, v21, v25
	v_add_f32_e32 v23, v20, v26
	v_mul_lo_u16 v20, v170, 3
	v_add_f32_e32 v82, v21, v25
	v_add_f32_e32 v84, v22, v26
	v_sub_f32_e32 v88, v22, v26
	v_add_f32_e32 v22, v81, v25
	v_lshlrev_b32_sdwa v20, v211, v20 dst_sel:DWORD dst_unused:UNUSED_PAD src0_sel:DWORD src1_sel:WORD_0
	v_fmamk_f32 v25, v46, 0x3f5db3d7, v0
	v_fmamk_f32 v26, v48, 0xbf5db3d7, v1
	v_fmac_f32_e32 v0, 0xbf5db3d7, v46
	v_fmac_f32_e32 v1, 0x3f5db3d7, v48
	buffer_store_dword v20, off, s[20:23], 0 offset:252 ; 4-byte Folded Spill
	s_waitcnt_vscnt null, 0x0
	s_barrier
	buffer_gl0_inv
	ds_write_b64 v20, v[0:1] offset:16
	v_mul_u32_u24_e32 v0, 3, v39
	ds_write2_b64 v20, v[28:29], v[25:26] offset1:1
	v_fmamk_f32 v1, v52, 0xbf5db3d7, v3
	v_fmac_f32_e32 v3, 0x3f5db3d7, v52
	v_fma_f32 v18, -0.5, v84, v18
	v_lshlrev_b32_e32 v20, 3, v0
	v_fmamk_f32 v0, v50, 0x3f5db3d7, v2
	v_fmac_f32_e32 v2, 0xbf5db3d7, v50
	v_fmac_f32_e32 v19, -0.5, v86
	v_add_f32_e32 v21, v78, v24
	buffer_store_dword v20, off, s[20:23], 0 offset:256 ; 4-byte Folded Spill
	ds_write2_b64 v20, v[30:31], v[0:1] offset1:1
	ds_write_b64 v20, v[2:3] offset:16
	v_fma_f32 v0, -0.5, v53, v12
	v_fma_f32 v1, -0.5, v55, v13
	v_mul_u32_u24_e32 v2, 3, v160
	v_and_b32_e32 v20, 0xff, v170
	v_add_f32_e32 v24, v87, v27
	v_fmamk_f32 v3, v56, 0xbf5db3d7, v1
	v_lshlrev_b32_e32 v12, 3, v2
	v_fmamk_f32 v2, v54, 0x3f5db3d7, v0
	v_fmac_f32_e32 v0, 0xbf5db3d7, v54
	v_fmac_f32_e32 v1, 0x3f5db3d7, v56
	buffer_store_dword v12, off, s[20:23], 0 offset:260 ; 4-byte Folded Spill
	ds_write2_b64 v12, v[32:33], v[2:3] offset1:1
	ds_write_b64 v12, v[0:1] offset:16
	v_mul_u32_u24_e32 v0, 3, v172
	v_fmamk_f32 v1, v61, 0xbf5db3d7, v15
	v_fmac_f32_e32 v15, 0x3f5db3d7, v61
	v_lshlrev_b32_e32 v2, 3, v0
	v_fmamk_f32 v0, v59, 0x3f5db3d7, v14
	v_fmac_f32_e32 v14, 0xbf5db3d7, v59
	v_and_b32_e32 v59, 0xff, v39
	buffer_store_dword v2, off, s[20:23], 0 offset:268 ; 4-byte Folded Spill
	ds_write2_b64 v2, v[34:35], v[0:1] offset1:1
	ds_write_b64 v2, v[14:15] offset:16
	v_fma_f32 v0, -0.5, v62, v4
	v_fma_f32 v1, -0.5, v64, v5
	v_mul_u32_u24_e32 v2, 3, v212
	v_mul_lo_u16 v5, 0xab, v20
	v_mov_b32_e32 v35, 15
	v_fmamk_f32 v3, v65, 0xbf5db3d7, v1
	v_lshlrev_b32_e32 v4, 3, v2
	v_fmamk_f32 v2, v63, 0x3f5db3d7, v0
	v_fmac_f32_e32 v0, 0xbf5db3d7, v63
	v_fmac_f32_e32 v1, 0x3f5db3d7, v65
	buffer_store_dword v4, off, s[20:23], 0 offset:264 ; 4-byte Folded Spill
	ds_write2_b64 v4, v[37:38], v[2:3] offset1:1
	v_mul_u32_u24_e32 v2, 3, v223
	ds_write_b64 v4, v[0:1] offset:16
	v_fmamk_f32 v0, v67, 0x3f5db3d7, v6
	v_fmamk_f32 v1, v69, 0xbf5db3d7, v7
	v_fmac_f32_e32 v6, 0xbf5db3d7, v67
	v_lshlrev_b32_e32 v2, 3, v2
	v_fmac_f32_e32 v7, 0x3f5db3d7, v69
	ds_write2_b64 v2, v[40:41], v[0:1] offset1:1
	buffer_store_dword v2, off, s[20:23], 0 offset:272 ; 4-byte Folded Spill
	ds_write_b64 v2, v[6:7] offset:16
	v_add_nc_u32_e32 v2, 0x2ee, v96
	v_fma_f32 v0, -0.5, v70, v8
	v_fma_f32 v1, -0.5, v72, v9
	v_add_nc_u32_e32 v6, 0x3e8, v96
	v_add_nc_u32_e32 v7, 0x465, v96
	v_mul_u32_u24_e32 v4, 3, v2
	v_fmamk_f32 v2, v71, 0x3f5db3d7, v0
	v_fmamk_f32 v3, v73, 0xbf5db3d7, v1
	v_fmac_f32_e32 v0, 0xbf5db3d7, v71
	v_fmac_f32_e32 v1, 0x3f5db3d7, v73
	v_lshlrev_b32_e32 v4, 3, v4
	v_mul_u32_u24_e32 v6, 3, v6
	v_mul_u32_u24_e32 v7, 3, v7
	ds_write_b64 v4, v[0:1] offset:16
	v_add_nc_u32_e32 v0, 0x36b, v96
	ds_write2_b64 v4, v[42:43], v[2:3] offset1:1
	v_fmamk_f32 v1, v77, 0xbf5db3d7, v11
	v_fmac_f32_e32 v11, 0x3f5db3d7, v77
	v_lshlrev_b32_e32 v9, 3, v6
	v_mul_u32_u24_e32 v2, 3, v0
	v_fmamk_f32 v0, v75, 0x3f5db3d7, v10
	v_fmac_f32_e32 v10, 0xbf5db3d7, v75
	buffer_store_dword v4, off, s[20:23], 0 offset:276 ; 4-byte Folded Spill
	v_fmamk_f32 v4, v85, 0x3f5db3d7, v18
	v_lshlrev_b32_e32 v2, 3, v2
	v_lshlrev_b32_e32 v6, 3, v7
	v_fmac_f32_e32 v18, 0xbf5db3d7, v85
	buffer_store_dword v9, off, s[20:23], 0 offset:284 ; 4-byte Folded Spill
	ds_write2_b64 v2, v[44:45], v[0:1] offset1:1
	v_fma_f32 v1, -0.5, v82, v17
	v_lshrrev_b16 v17, 9, v5
	v_fma_f32 v0, -0.5, v79, v16
	buffer_store_dword v2, off, s[20:23], 0 offset:280 ; 4-byte Folded Spill
	ds_write_b64 v2, v[10:11] offset:16
	v_fmamk_f32 v3, v83, 0xbf5db3d7, v1
	v_mul_lo_u16 v8, v17, 3
	v_fmamk_f32 v2, v80, 0x3f5db3d7, v0
	v_fmac_f32_e32 v0, 0xbf5db3d7, v80
	v_fmac_f32_e32 v1, 0x3f5db3d7, v83
	v_fmamk_f32 v5, v88, 0xbf5db3d7, v19
	v_sub_nc_u16 v8, v170, v8
	v_fmac_f32_e32 v19, 0x3f5db3d7, v88
	ds_write2_b64 v9, v[21:22], v[2:3] offset1:1
	ds_write_b64 v9, v[0:1] offset:16
	ds_write2_b64 v6, v[23:24], v[4:5] offset1:1
	buffer_store_dword v6, off, s[20:23], 0 offset:288 ; 4-byte Folded Spill
	v_mul_lo_u16 v1, 0xab, v59
	v_and_b32_e32 v16, 0xff, v8
	ds_write_b64 v6, v[18:19] offset:16
	s_waitcnt lgkmcnt(0)
	s_waitcnt_vscnt null, 0x0
	s_barrier
	buffer_gl0_inv
	v_lshlrev_b32_e32 v0, 5, v16
	ds_read2_b64 v[2:5], v92 offset0:110 offset1:235
	v_lshrrev_b16 v23, 9, v1
	s_clause 0x1
	global_load_dwordx4 v[219:222], v0, s[10:11]
	global_load_dwordx4 v[12:15], v0, s[10:11] offset:16
	v_mul_lo_u16 v1, v23, 3
	v_sub_nc_u16 v1, v39, v1
	v_and_b32_e32 v24, 0xff, v1
	s_waitcnt vmcnt(1) lgkmcnt(0)
	v_mul_f32_e32 v0, v3, v220
	v_fma_f32 v1, v2, v219, -v0
	v_mul_f32_e32 v0, v2, v220
	v_lshlrev_b32_e32 v2, 5, v24
	s_clause 0x1
	global_load_dwordx4 v[203:206], v2, s[10:11]
	global_load_dwordx4 v[207:210], v2, s[10:11] offset:16
	v_fmac_f32_e32 v0, v3, v219
	s_waitcnt vmcnt(1)
	v_mul_f32_e32 v2, v5, v204
	v_mul_f32_e32 v21, v4, v204
	v_fma_f32 v22, v4, v203, -v2
	v_fmac_f32_e32 v21, v5, v203
	ds_read2_b64 v[4:7], v90 offset0:92 offset1:217
	s_waitcnt lgkmcnt(0)
	v_mul_f32_e32 v2, v5, v222
	v_mul_f32_e32 v25, v6, v206
	v_fma_f32 v3, v4, v221, -v2
	v_mul_f32_e32 v2, v4, v222
	v_mul_f32_e32 v4, v7, v206
	v_fmac_f32_e32 v25, v7, v205
	v_fmac_f32_e32 v2, v5, v221
	v_fma_f32 v26, v6, v205, -v4
	ds_read2_b64 v[6:9], v89 offset0:74 offset1:199
	buffer_store_dword v12, off, s[20:23], 0 offset:292 ; 4-byte Folded Spill
	buffer_store_dword v13, off, s[20:23], 0 offset:296 ; 4-byte Folded Spill
	;; [unrolled: 1-line block ×4, first 2 shown]
	s_waitcnt vmcnt(0) lgkmcnt(0)
	v_mul_f32_e32 v27, v8, v208
	v_fmac_f32_e32 v27, v9, v207
	v_mul_f32_e32 v4, v7, v13
	v_fma_f32 v5, v6, v12, -v4
	v_mul_f32_e32 v4, v6, v13
	v_mul_f32_e32 v6, v9, v208
	v_sub_f32_e32 v87, v3, v5
	v_fmac_f32_e32 v4, v7, v12
	v_fma_f32 v28, v8, v207, -v6
	ds_read2_b64 v[8:11], v91 offset0:56 offset1:181
	v_sub_f32_e32 v86, v2, v4
	s_waitcnt lgkmcnt(0)
	v_mul_f32_e32 v6, v9, v15
	v_mul_f32_e32 v29, v10, v210
	v_fma_f32 v7, v8, v14, -v6
	v_mul_f32_e32 v6, v8, v15
	v_mul_f32_e32 v8, v11, v210
	v_fmac_f32_e32 v29, v11, v209
	v_sub_f32_e32 v85, v1, v7
	v_fmac_f32_e32 v6, v9, v14
	v_fma_f32 v30, v10, v209, -v8
	ds_read2_b64 v[10:13], v192 offset1:125
	v_mul_u32_u24_sdwa v8, v17, v35 dst_sel:DWORD dst_unused:UNUSED_PAD src0_sel:WORD_0 src1_sel:DWORD
	v_sub_f32_e32 v9, v7, v5
	v_sub_f32_e32 v84, v0, v6
	v_add_lshl_u32 v110, v8, v16, 3
	v_sub_f32_e32 v8, v1, v3
	v_add_f32_e32 v56, v8, v9
	v_add_f32_e32 v8, v3, v5
	;; [unrolled: 1-line block ×3, first 2 shown]
	s_waitcnt lgkmcnt(0)
	v_fma_f32 v14, -0.5, v8, v10
	v_fma_f32 v15, -0.5, v9, v11
	v_sub_f32_e32 v8, v0, v2
	v_sub_f32_e32 v9, v6, v4
	v_fmamk_f32 v76, v84, 0x3f737871, v14
	v_fmac_f32_e32 v14, 0xbf737871, v84
	v_fmamk_f32 v77, v85, 0xbf737871, v15
	v_add_f32_e32 v57, v8, v9
	v_add_f32_e32 v8, v10, v1
	;; [unrolled: 1-line block ×3, first 2 shown]
	v_fmac_f32_e32 v76, 0x3f167918, v86
	v_fmac_f32_e32 v14, 0xbf167918, v86
	;; [unrolled: 1-line block ×3, first 2 shown]
	v_add_f32_e32 v8, v8, v3
	v_add_f32_e32 v9, v9, v2
	v_sub_f32_e32 v3, v3, v1
	v_add_f32_e32 v1, v1, v7
	v_sub_f32_e32 v2, v2, v0
	v_add_f32_e32 v8, v8, v5
	v_add_f32_e32 v9, v9, v4
	v_sub_f32_e32 v5, v5, v7
	v_sub_f32_e32 v4, v4, v6
	v_fmac_f32_e32 v76, 0x3e9e377a, v56
	v_add_f32_e32 v37, v8, v7
	v_mov_b32_e32 v8, 0xaaab
	v_add_f32_e32 v38, v9, v6
	v_add_f32_e32 v7, v0, v6
	v_fma_f32 v0, -0.5, v1, v10
	v_add_f32_e32 v4, v2, v4
	v_mul_u32_u24_sdwa v9, v160, v8 dst_sel:DWORD dst_unused:UNUSED_PAD src0_sel:WORD_0 src1_sel:DWORD
	v_mul_u32_u24_sdwa v16, v172, v8 dst_sel:DWORD dst_unused:UNUSED_PAD src0_sel:WORD_0 src1_sel:DWORD
	;; [unrolled: 1-line block ×4, first 2 shown]
	v_fmamk_f32 v2, v86, 0xbf737871, v0
	v_lshrrev_b32_e32 v78, 17, v9
	v_lshrrev_b32_e32 v79, 17, v16
	;; [unrolled: 1-line block ×4, first 2 shown]
	v_fmac_f32_e32 v0, 0x3f737871, v86
	v_mul_lo_u16 v9, v78, 3
	v_add_f32_e32 v3, v3, v5
	v_fma_f32 v1, -0.5, v7, v11
	v_fmac_f32_e32 v2, 0x3f167918, v84
	v_fmac_f32_e32 v0, 0xbf167918, v84
	v_sub_nc_u16 v81, v160, v9
	v_mul_lo_u16 v9, v79, 3
	v_fmac_f32_e32 v14, 0x3e9e377a, v56
	v_fmac_f32_e32 v2, 0x3e9e377a, v3
	;; [unrolled: 1-line block ×3, first 2 shown]
	v_lshlrev_b16 v16, 2, v81
	v_sub_nc_u16 v82, v172, v9
	v_mul_lo_u16 v9, v80, 3
	v_fmamk_f32 v3, v87, 0x3f737871, v1
	v_fmac_f32_e32 v1, 0xbf737871, v87
	v_lshlrev_b32_sdwa v16, v211, v16 dst_sel:DWORD dst_unused:UNUSED_PAD src0_sel:DWORD src1_sel:WORD_0
	v_lshlrev_b16 v17, 2, v82
	v_sub_nc_u16 v83, v212, v9
	v_mul_lo_u16 v9, v8, 3
	v_fmac_f32_e32 v3, 0xbf167918, v85
	v_fmac_f32_e32 v1, 0x3f167918, v85
	v_lshlrev_b32_sdwa v17, v211, v17 dst_sel:DWORD dst_unused:UNUSED_PAD src0_sel:DWORD src1_sel:WORD_0
	v_lshlrev_b16 v18, 2, v83
	v_sub_nc_u16 v9, v223, v9
	v_fmac_f32_e32 v3, 0x3e9e377a, v4
	v_fmac_f32_e32 v1, 0x3e9e377a, v4
	v_add_f32_e32 v4, v12, v22
	v_lshlrev_b32_sdwa v18, v211, v18 dst_sel:DWORD dst_unused:UNUSED_PAD src0_sel:DWORD src1_sel:WORD_0
	v_lshlrev_b16 v19, 2, v9
	v_add_f32_e32 v5, v13, v21
	v_sub_f32_e32 v6, v27, v29
	v_sub_f32_e32 v7, v25, v27
	v_fmac_f32_e32 v15, 0x3f167918, v87
	v_lshlrev_b32_sdwa v19, v211, v19 dst_sel:DWORD dst_unused:UNUSED_PAD src0_sel:DWORD src1_sel:WORD_0
	s_clause 0x7
	global_load_dwordx4 v[88:91], v16, s[10:11]
	global_load_dwordx4 v[116:119], v16, s[10:11] offset:16
	global_load_dwordx4 v[120:123], v17, s[10:11]
	global_load_dwordx4 v[112:115], v17, s[10:11] offset:16
	;; [unrolled: 2-line block ×4, first 2 shown]
	ds_read2_b64 v[31:34], v217 offset0:122 offset1:247
	ds_read2_b64 v[40:43], v108 offset0:104 offset1:229
	ds_read2_b64 v[44:47], v109 offset0:86 offset1:211
	ds_read2_b64 v[48:51], v98 offset0:68 offset1:193
	ds_read2_b64 v[52:55], v99 offset0:50 offset1:175
	ds_read2_b64 v[16:19], v162 offset0:116 offset1:241
	ds_read2_b64 v[60:63], v97 offset0:98 offset1:223
	ds_read2_b64 v[64:67], v163 offset0:80 offset1:205
	ds_read2_b64 v[68:71], v124 offset0:62 offset1:187
	ds_read2_b64 v[72:75], v125 offset0:44 offset1:169
	s_waitcnt vmcnt(0) lgkmcnt(0)
	s_waitcnt_vscnt null, 0x0
	s_barrier
	buffer_gl0_inv
	ds_write2_b64 v110, v[2:3], v[0:1] offset0:6 offset1:9
	v_mul_u32_u24_sdwa v0, v23, v35 dst_sel:DWORD dst_unused:UNUSED_PAD src0_sel:WORD_0 src1_sel:DWORD
	v_add_f32_e32 v1, v22, v30
	v_sub_f32_e32 v2, v28, v30
	v_sub_f32_e32 v10, v21, v29
	v_fmac_f32_e32 v15, 0x3e9e377a, v57
	v_add_lshl_u32 v56, v0, v24, 3
	v_add_f32_e32 v0, v26, v28
	v_sub_f32_e32 v11, v26, v28
	v_fmac_f32_e32 v77, 0xbf167918, v87
	ds_write_b64 v110, v[14:15] offset:96
	v_sub_f32_e32 v14, v22, v30
	v_fma_f32 v0, -0.5, v0, v12
	v_fma_f32 v12, -0.5, v1, v12
	v_sub_f32_e32 v1, v26, v22
	v_fmac_f32_e32 v77, 0x3e9e377a, v57
	v_sub_f32_e32 v22, v22, v26
	v_mad_u16 v8, v8, 15, v9
	buffer_store_dword v110, off, s[20:23], 0 offset:308 ; 4-byte Folded Spill
	v_add_f32_e32 v3, v1, v2
	v_add_f32_e32 v1, v25, v27
	v_add_f32_e32 v2, v21, v29
	ds_write2_b64 v110, v[37:38], v[76:77] offset1:3
	v_lshlrev_b32_sdwa v8, v211, v8 dst_sel:DWORD dst_unused:UNUSED_PAD src0_sel:DWORD src1_sel:WORD_0
	buffer_store_dword v56, off, s[20:23], 0 offset:312 ; 4-byte Folded Spill
	v_fma_f32 v1, -0.5, v1, v13
	v_fmac_f32_e32 v13, -0.5, v2
	v_sub_f32_e32 v2, v25, v21
	v_add_f32_e32 v6, v2, v6
	v_fmamk_f32 v2, v7, 0xbf737871, v12
	v_fmac_f32_e32 v12, 0x3f737871, v7
	v_fmac_f32_e32 v2, 0x3f167918, v10
	;; [unrolled: 1-line block ×5, first 2 shown]
	v_fmamk_f32 v3, v11, 0x3f737871, v13
	v_fmac_f32_e32 v13, 0xbf737871, v11
	v_fmac_f32_e32 v3, 0xbf167918, v14
	v_fmac_f32_e32 v13, 0x3f167918, v14
	v_fmac_f32_e32 v3, 0x3e9e377a, v6
	v_fmac_f32_e32 v13, 0x3e9e377a, v6
	ds_write2_b64 v56, v[2:3], v[12:13] offset0:6 offset1:9
	v_add_f32_e32 v3, v5, v25
	v_sub_f32_e32 v5, v30, v28
	v_add_f32_e32 v3, v3, v27
	v_add_f32_e32 v22, v22, v5
	v_fmamk_f32 v5, v14, 0xbf737871, v1
	v_fmac_f32_e32 v1, 0x3f737871, v14
	v_add_f32_e32 v3, v3, v29
	v_fmac_f32_e32 v5, 0xbf167918, v11
	v_fmac_f32_e32 v1, 0x3f167918, v11
	v_mul_f32_e32 v2, v41, v89
	v_mul_f32_e32 v12, v40, v89
	;; [unrolled: 1-line block ×5, first 2 shown]
	v_fma_f32 v6, v40, v88, -v2
	v_mul_f32_e32 v2, v43, v121
	v_fmac_f32_e32 v12, v41, v88
	v_fmac_f32_e32 v15, v43, v120
	;; [unrolled: 1-line block ×3, first 2 shown]
	v_mul_f32_e32 v40, v48, v117
	v_fma_f32 v13, v42, v120, -v2
	v_mul_f32_e32 v2, v45, v91
	v_mul_f32_e32 v42, v50, v113
	v_fmac_f32_e32 v37, v47, v122
	v_fmac_f32_e32 v40, v49, v116
	v_fma_f32 v23, v44, v90, -v2
	v_mul_f32_e32 v2, v47, v123
	v_mul_f32_e32 v44, v52, v119
	v_fmac_f32_e32 v42, v51, v112
	v_fma_f32 v35, v46, v122, -v2
	v_mul_f32_e32 v2, v49, v117
	v_fmac_f32_e32 v44, v53, v118
	v_mul_f32_e32 v46, v54, v115
	v_fma_f32 v38, v48, v116, -v2
	v_mul_f32_e32 v2, v51, v113
	v_sub_f32_e32 v14, v12, v44
	v_fmac_f32_e32 v46, v55, v114
	v_fma_f32 v41, v50, v112, -v2
	v_mul_f32_e32 v2, v53, v119
	v_fma_f32 v43, v52, v118, -v2
	v_mul_f32_e32 v2, v55, v115
	v_fma_f32 v45, v54, v114, -v2
	v_add_f32_e32 v2, v4, v26
	v_sub_f32_e32 v4, v21, v25
	v_sub_f32_e32 v21, v29, v27
	;; [unrolled: 1-line block ×3, first 2 shown]
	v_add_f32_e32 v2, v2, v28
	v_mul_f32_e32 v28, v68, v93
	v_add_f32_e32 v21, v4, v21
	v_fmamk_f32 v4, v10, 0x3f737871, v0
	v_fmac_f32_e32 v0, 0xbf737871, v10
	v_add_f32_e32 v2, v2, v30
	v_fmac_f32_e32 v28, v69, v92
	v_fmac_f32_e32 v1, 0x3e9e377a, v21
	;; [unrolled: 1-line block ×5, first 2 shown]
	v_sub_f32_e32 v21, v6, v43
	v_mad_u16 v7, v78, 15, v81
	v_fmac_f32_e32 v4, 0x3e9e377a, v22
	v_fmac_f32_e32 v0, 0x3e9e377a, v22
	v_sub_f32_e32 v22, v24, v40
	v_mul_f32_e32 v30, v70, v196
	v_lshlrev_b32_sdwa v26, v211, v7 dst_sel:DWORD dst_unused:UNUSED_PAD src0_sel:DWORD src1_sel:WORD_0
	ds_write2_b64 v56, v[2:3], v[4:5] offset1:3
	ds_write_b64 v56, v[0:1] offset:96
	v_sub_f32_e32 v0, v6, v23
	v_sub_f32_e32 v1, v43, v38
	v_sub_f32_e32 v2, v12, v24
	v_sub_f32_e32 v3, v44, v40
	v_sub_f32_e32 v7, v40, v44
	buffer_store_dword v26, off, s[20:23], 0 offset:316 ; 4-byte Folded Spill
	v_add_f32_e32 v10, v0, v1
	v_add_f32_e32 v0, v23, v38
	;; [unrolled: 1-line block ×6, first 2 shown]
	v_fma_f32 v0, -0.5, v0, v31
	v_fma_f32 v1, -0.5, v1, v32
	v_fmac_f32_e32 v30, v71, v195
	v_add_f32_e32 v2, v2, v23
	v_add_f32_e32 v3, v3, v24
	v_fmamk_f32 v4, v14, 0x3f737871, v0
	v_fmamk_f32 v5, v21, 0xbf737871, v1
	v_fmac_f32_e32 v0, 0xbf737871, v14
	v_add_f32_e32 v2, v2, v38
	v_add_f32_e32 v3, v3, v40
	v_fmac_f32_e32 v4, 0x3f167918, v22
	v_fmac_f32_e32 v5, 0xbf167918, v25
	v_fmac_f32_e32 v1, 0x3f737871, v21
	v_add_f32_e32 v2, v2, v43
	v_add_f32_e32 v3, v3, v44
	v_fmac_f32_e32 v4, 0x3e9e377a, v10
	v_fmac_f32_e32 v5, 0x3e9e377a, v11
	v_fmac_f32_e32 v0, 0xbf167918, v22
	v_fmac_f32_e32 v1, 0x3f167918, v25
	v_mov_b32_e32 v40, 0x4b
	ds_write2_b64 v26, v[2:3], v[4:5] offset1:3
	v_sub_f32_e32 v2, v23, v6
	v_sub_f32_e32 v3, v38, v43
	v_add_f32_e32 v4, v6, v43
	v_add_f32_e32 v6, v12, v44
	v_sub_f32_e32 v5, v24, v12
	v_fmac_f32_e32 v0, 0x3e9e377a, v10
	v_add_f32_e32 v12, v2, v3
	v_fma_f32 v2, -0.5, v4, v31
	v_fma_f32 v3, -0.5, v6, v32
	v_add_f32_e32 v6, v5, v7
	v_fmac_f32_e32 v1, 0x3e9e377a, v11
	v_sub_f32_e32 v7, v15, v46
	v_fmamk_f32 v4, v22, 0xbf737871, v2
	v_fmac_f32_e32 v2, 0x3f737871, v22
	v_fmamk_f32 v5, v25, 0x3f737871, v3
	v_fmac_f32_e32 v3, 0xbf737871, v25
	ds_write_b64 v26, v[0:1] offset:96
	v_fmac_f32_e32 v4, 0x3f167918, v14
	v_fmac_f32_e32 v2, 0xbf167918, v14
	;; [unrolled: 1-line block ×4, first 2 shown]
	v_add_f32_e32 v0, v35, v41
	v_fmac_f32_e32 v4, 0x3e9e377a, v12
	v_fmac_f32_e32 v2, 0x3e9e377a, v12
	;; [unrolled: 1-line block ×4, first 2 shown]
	v_add_f32_e32 v1, v13, v45
	v_fma_f32 v0, -0.5, v0, v33
	v_sub_f32_e32 v6, v37, v42
	v_sub_f32_e32 v10, v42, v46
	ds_write2_b64 v26, v[4:5], v[2:3] offset0:6 offset1:9
	v_add_f32_e32 v4, v33, v13
	v_fma_f32 v33, -0.5, v1, v33
	v_sub_f32_e32 v1, v35, v13
	v_sub_f32_e32 v2, v41, v45
	v_add_f32_e32 v5, v34, v15
	v_sub_f32_e32 v12, v35, v41
	v_sub_f32_e32 v14, v13, v45
	v_mad_u16 v11, v79, 15, v82
	v_add_f32_e32 v3, v1, v2
	v_fmamk_f32 v2, v6, 0xbf737871, v33
	v_fmac_f32_e32 v33, 0x3f737871, v6
	v_add_f32_e32 v1, v37, v42
	v_mul_f32_e32 v24, v64, v107
	v_mul_f32_e32 v32, v72, v95
	v_fmac_f32_e32 v2, 0x3f167918, v7
	v_fmac_f32_e32 v33, 0xbf167918, v7
	v_fma_f32 v1, -0.5, v1, v34
	v_fmac_f32_e32 v24, v65, v106
	v_fmac_f32_e32 v32, v73, v94
	;; [unrolled: 1-line block ×4, first 2 shown]
	v_add_f32_e32 v3, v15, v46
	v_mul_f32_e32 v26, v66, v103
	v_mul_f32_e32 v22, v62, v101
	v_fmac_f32_e32 v34, -0.5, v3
	v_sub_f32_e32 v3, v37, v15
	v_fmac_f32_e32 v26, v67, v102
	v_fmac_f32_e32 v22, v63, v100
	v_add_f32_e32 v10, v3, v10
	v_fmamk_f32 v3, v12, 0x3f737871, v34
	v_fmac_f32_e32 v34, 0xbf737871, v12
	v_fmac_f32_e32 v3, 0xbf167918, v14
	;; [unrolled: 1-line block ×5, first 2 shown]
	v_lshlrev_b32_sdwa v10, v211, v11 dst_sel:DWORD dst_unused:UNUSED_PAD src0_sel:DWORD src1_sel:WORD_0
	v_mul_f32_e32 v11, v60, v105
	ds_write2_b64 v10, v[2:3], v[33:34] offset0:6 offset1:9
	v_mul_f32_e32 v2, v61, v105
	v_mov_b32_e32 v38, v10
	v_add_f32_e32 v3, v5, v37
	v_sub_f32_e32 v5, v15, v37
	v_sub_f32_e32 v15, v46, v42
	v_fma_f32 v10, v60, v104, -v2
	v_mul_f32_e32 v2, v63, v101
	v_add_f32_e32 v3, v3, v42
	v_fmac_f32_e32 v11, v61, v104
	v_add_f32_e32 v15, v5, v15
	v_fmamk_f32 v5, v14, 0xbf737871, v1
	v_fma_f32 v21, v62, v100, -v2
	v_mul_f32_e32 v2, v65, v107
	v_fmac_f32_e32 v1, 0x3f737871, v14
	v_add_f32_e32 v3, v3, v46
	v_fmac_f32_e32 v5, 0xbf167918, v12
	v_sub_f32_e32 v14, v24, v28
	v_fma_f32 v23, v64, v106, -v2
	v_mul_f32_e32 v2, v67, v103
	v_fmac_f32_e32 v1, 0x3f167918, v12
	v_fmac_f32_e32 v5, 0x3e9e377a, v15
	v_mad_u16 v12, v80, 15, v83
	v_mul_f32_e32 v34, v74, v198
	v_fma_f32 v25, v66, v102, -v2
	v_mul_f32_e32 v2, v69, v93
	v_fmac_f32_e32 v1, 0x3e9e377a, v15
	v_lshlrev_b32_sdwa v12, v211, v12 dst_sel:DWORD dst_unused:UNUSED_PAD src0_sel:DWORD src1_sel:WORD_0
	v_fmac_f32_e32 v34, v75, v197
	buffer_store_dword v38, off, s[20:23], 0 offset:324 ; 4-byte Folded Spill
	v_fma_f32 v27, v68, v92, -v2
	v_mul_f32_e32 v2, v71, v196
	buffer_store_dword v12, off, s[20:23], 0 offset:328 ; 4-byte Folded Spill
	v_fma_f32 v29, v70, v195, -v2
	v_mul_f32_e32 v2, v73, v95
	v_sub_f32_e32 v9, v25, v29
	v_fma_f32 v31, v72, v94, -v2
	v_mul_f32_e32 v2, v75, v198
	v_sub_f32_e32 v15, v10, v31
	v_fma_f32 v33, v74, v197, -v2
	v_add_f32_e32 v2, v4, v35
	v_sub_f32_e32 v4, v13, v35
	v_sub_f32_e32 v13, v45, v41
	v_sub_f32_e32 v35, v23, v27
	v_add_f32_e32 v2, v2, v41
	v_add_f32_e32 v13, v4, v13
	v_fmamk_f32 v4, v7, 0x3f737871, v0
	v_fmac_f32_e32 v0, 0xbf737871, v7
	v_add_f32_e32 v2, v2, v45
	v_fmac_f32_e32 v4, 0x3f167918, v6
	v_fmac_f32_e32 v0, 0xbf167918, v6
	;; [unrolled: 1-line block ×4, first 2 shown]
	v_sub_f32_e32 v13, v11, v32
	ds_write2_b64 v38, v[2:3], v[4:5] offset1:3
	ds_write_b64 v38, v[0:1] offset:96
	v_sub_f32_e32 v0, v10, v23
	v_sub_f32_e32 v1, v31, v27
	v_add_f32_e32 v2, v16, v10
	v_add_f32_e32 v3, v17, v11
	v_sub_f32_e32 v4, v11, v24
	v_sub_f32_e32 v5, v32, v28
	v_add_f32_e32 v6, v0, v1
	v_add_f32_e32 v0, v23, v27
	v_add_f32_e32 v1, v24, v28
	v_add_f32_e32 v2, v2, v23
	v_add_f32_e32 v3, v3, v24
	v_add_f32_e32 v7, v4, v5
	v_fma_f32 v0, -0.5, v0, v16
	v_fma_f32 v1, -0.5, v1, v17
	v_add_f32_e32 v2, v2, v27
	v_add_f32_e32 v3, v3, v28
	v_fmamk_f32 v4, v13, 0x3f737871, v0
	v_fmamk_f32 v5, v15, 0xbf737871, v1
	v_add_f32_e32 v2, v2, v31
	v_add_f32_e32 v3, v3, v32
	v_fmac_f32_e32 v0, 0xbf737871, v13
	v_fmac_f32_e32 v4, 0x3f167918, v14
	;; [unrolled: 1-line block ×9, first 2 shown]
	v_sub_f32_e32 v6, v26, v30
	ds_write2_b64 v12, v[2:3], v[4:5] offset1:3
	v_sub_f32_e32 v2, v23, v10
	v_sub_f32_e32 v3, v27, v31
	v_add_f32_e32 v4, v10, v31
	v_sub_f32_e32 v10, v24, v11
	v_fmac_f32_e32 v1, 0x3e9e377a, v7
	v_sub_f32_e32 v7, v22, v34
	v_add_f32_e32 v5, v2, v3
	v_fma_f32 v2, -0.5, v4, v16
	v_add_f32_e32 v3, v11, v32
	v_sub_f32_e32 v11, v28, v32
	ds_write_b64 v12, v[0:1] offset:96
	v_add_f32_e32 v0, v25, v29
	v_fmamk_f32 v4, v14, 0xbf737871, v2
	v_fmac_f32_e32 v2, 0x3f737871, v14
	v_fma_f32 v3, -0.5, v3, v17
	v_add_f32_e32 v10, v10, v11
	v_add_f32_e32 v1, v21, v33
	v_fmac_f32_e32 v4, 0x3f167918, v13
	v_fmac_f32_e32 v2, 0xbf167918, v13
	v_fma_f32 v0, -0.5, v0, v18
	v_sub_f32_e32 v11, v21, v33
	v_fmac_f32_e32 v4, 0x3e9e377a, v5
	v_fmac_f32_e32 v2, 0x3e9e377a, v5
	v_fmamk_f32 v5, v35, 0x3f737871, v3
	v_fmac_f32_e32 v3, 0xbf737871, v35
	v_fmac_f32_e32 v5, 0xbf167918, v15
	v_fmac_f32_e32 v3, 0x3f167918, v15
	v_fmac_f32_e32 v5, 0x3e9e377a, v10
	v_fmac_f32_e32 v3, 0x3e9e377a, v10
	v_sub_f32_e32 v10, v30, v34
	ds_write2_b64 v12, v[4:5], v[2:3] offset0:6 offset1:9
	v_add_f32_e32 v4, v18, v21
	v_fma_f32 v18, -0.5, v1, v18
	v_sub_f32_e32 v1, v25, v21
	v_sub_f32_e32 v2, v29, v33
	v_add_f32_e32 v5, v19, v22
	v_mov_b32_e32 v12, v8
	v_add_f32_e32 v3, v1, v2
	v_fmamk_f32 v2, v6, 0xbf737871, v18
	v_fmac_f32_e32 v18, 0x3f737871, v6
	v_add_f32_e32 v1, v26, v30
	buffer_store_dword v12, off, s[20:23], 0 offset:320 ; 4-byte Folded Spill
	v_fmac_f32_e32 v2, 0x3f167918, v7
	v_fmac_f32_e32 v18, 0xbf167918, v7
	v_fma_f32 v1, -0.5, v1, v19
	v_fmac_f32_e32 v2, 0x3e9e377a, v3
	v_fmac_f32_e32 v18, 0x3e9e377a, v3
	v_add_f32_e32 v3, v22, v34
	v_fmac_f32_e32 v19, -0.5, v3
	v_sub_f32_e32 v3, v26, v22
	v_add_f32_e32 v10, v3, v10
	v_fmamk_f32 v3, v9, 0x3f737871, v19
	v_fmac_f32_e32 v19, 0xbf737871, v9
	v_fmac_f32_e32 v3, 0xbf167918, v11
	;; [unrolled: 1-line block ×5, first 2 shown]
	v_sub_f32_e32 v10, v34, v30
	ds_write2_b64 v8, v[2:3], v[18:19] offset0:6 offset1:9
	v_add_f32_e32 v2, v4, v25
	v_sub_f32_e32 v4, v21, v25
	v_add_f32_e32 v3, v5, v26
	v_sub_f32_e32 v5, v22, v26
	v_sub_f32_e32 v8, v33, v29
	v_add_f32_e32 v2, v2, v29
	v_add_f32_e32 v3, v3, v30
	;; [unrolled: 1-line block ×4, first 2 shown]
	v_fmamk_f32 v4, v7, 0x3f737871, v0
	v_fmamk_f32 v5, v11, 0xbf737871, v1
	v_fmac_f32_e32 v0, 0xbf737871, v7
	v_fmac_f32_e32 v1, 0x3f737871, v11
	v_add_f32_e32 v2, v2, v33
	v_fmac_f32_e32 v4, 0x3f167918, v6
	v_fmac_f32_e32 v5, 0xbf167918, v9
	v_fmac_f32_e32 v0, 0xbf167918, v6
	v_fmac_f32_e32 v1, 0x3f167918, v9
	v_add_f32_e32 v3, v3, v34
	v_fmac_f32_e32 v4, 0x3e9e377a, v8
	v_fmac_f32_e32 v5, 0x3e9e377a, v10
	;; [unrolled: 1-line block ×4, first 2 shown]
	ds_write2_b64 v12, v[2:3], v[4:5] offset1:3
	ds_write_b64 v12, v[0:1] offset:96
	v_mul_lo_u16 v0, 0x89, v20
	s_waitcnt lgkmcnt(0)
	s_waitcnt_vscnt null, 0x0
	s_barrier
	buffer_gl0_inv
	v_lshrrev_b16 v2, 11, v0
	v_mul_lo_u16 v0, 0x89, v59
	v_mul_lo_u16 v1, v2, 15
	v_lshrrev_b16 v0, 11, v0
	v_mul_u32_u24_sdwa v2, v2, v40 dst_sel:DWORD dst_unused:UNUSED_PAD src0_sel:WORD_0 src1_sel:DWORD
	v_sub_nc_u16 v1, v170, v1
	v_mul_lo_u16 v3, v0, 15
	v_mul_u32_u24_sdwa v0, v0, v40 dst_sel:DWORD dst_unused:UNUSED_PAD src0_sel:WORD_0 src1_sel:DWORD
	v_sub_nc_u16 v4, v39, v3
	v_and_b32_e32 v3, 0xff, v1
	v_and_b32_e32 v1, 0xff, v4
	v_lshlrev_b32_e32 v4, 5, v3
	s_clause 0x1
	global_load_dwordx4 v[10:13], v4, s[10:11] offset:96
	global_load_dwordx4 v[20:23], v4, s[10:11] offset:112
	ds_read2_b64 v[4:7], v126 offset0:110 offset1:235
	v_add_lshl_u32 v87, v2, v3, 3
	s_waitcnt vmcnt(1) lgkmcnt(0)
	v_mul_f32_e32 v8, v5, v11
	v_mul_f32_e32 v14, v4, v11
	v_fma_f32 v15, v4, v10, -v8
	v_lshlrev_b32_e32 v4, 5, v1
	v_fmac_f32_e32 v14, v5, v10
	global_load_dwordx4 v[16:19], v4, s[10:11] offset:96
	s_waitcnt vmcnt(0)
	buffer_store_dword v16, off, s[20:23], 0 offset:536 ; 4-byte Folded Spill
	buffer_store_dword v17, off, s[20:23], 0 offset:540 ; 4-byte Folded Spill
	;; [unrolled: 1-line block ×4, first 2 shown]
	global_load_dwordx4 v[24:27], v4, s[10:11] offset:112
	v_mul_f32_e32 v4, v7, v17
	v_fma_f32 v5, v6, v16, -v4
	v_mul_f32_e32 v4, v6, v17
	v_fmac_f32_e32 v4, v7, v16
	ds_read2_b64 v[6:9], v161 offset0:92 offset1:217
	buffer_store_dword v10, off, s[20:23], 0 offset:424 ; 4-byte Folded Spill
	buffer_store_dword v11, off, s[20:23], 0 offset:428 ; 4-byte Folded Spill
	;; [unrolled: 1-line block ×4, first 2 shown]
	s_waitcnt lgkmcnt(0)
	v_mul_f32_e32 v10, v7, v13
	v_mul_f32_e32 v37, v6, v13
	v_fma_f32 v38, v6, v12, -v10
	v_mul_f32_e32 v6, v9, v19
	v_fmac_f32_e32 v37, v7, v12
	v_sub_f32_e32 v2, v15, v38
	v_fma_f32 v7, v8, v18, -v6
	v_mul_f32_e32 v6, v8, v19
	v_fmac_f32_e32 v6, v9, v18
	ds_read2_b64 v[8:11], v127 offset0:74 offset1:199
	ds_read2_b64 v[16:19], v111 offset0:56 offset1:181
	s_waitcnt lgkmcnt(1)
	v_mul_f32_e32 v12, v9, v21
	v_mul_f32_e32 v56, v8, v21
	v_fma_f32 v60, v8, v20, -v12
	v_fmac_f32_e32 v56, v9, v20
	buffer_store_dword v20, off, s[20:23], 0 offset:464 ; 4-byte Folded Spill
	buffer_store_dword v21, off, s[20:23], 0 offset:468 ; 4-byte Folded Spill
	buffer_store_dword v22, off, s[20:23], 0 offset:472 ; 4-byte Folded Spill
	buffer_store_dword v23, off, s[20:23], 0 offset:476 ; 4-byte Folded Spill
	s_waitcnt vmcnt(0)
	v_mul_f32_e32 v8, v11, v25
	v_sub_f32_e32 v86, v38, v60
	v_sub_f32_e32 v85, v37, v56
	v_fma_f32 v9, v10, v24, -v8
	v_mul_f32_e32 v8, v10, v25
	v_sub_f32_e32 v40, v7, v9
	v_fmac_f32_e32 v8, v11, v24
	buffer_store_dword v24, off, s[20:23], 0 offset:448 ; 4-byte Folded Spill
	buffer_store_dword v25, off, s[20:23], 0 offset:452 ; 4-byte Folded Spill
	;; [unrolled: 1-line block ×4, first 2 shown]
	ds_read2_b64 v[63:66], v192 offset1:125
	s_waitcnt lgkmcnt(1)
	v_mul_f32_e32 v10, v17, v23
	v_mul_f32_e32 v61, v16, v23
	v_fma_f32 v62, v16, v22, -v10
	v_fmac_f32_e32 v61, v17, v22
	v_sub_f32_e32 v3, v62, v60
	v_sub_f32_e32 v51, v14, v61
	;; [unrolled: 1-line block ×3, first 2 shown]
	v_mul_f32_e32 v10, v19, v27
	v_mul_f32_e32 v12, v18, v27
	v_add_f32_e32 v41, v2, v3
	v_add_f32_e32 v2, v38, v60
	;; [unrolled: 1-line block ×3, first 2 shown]
	v_fma_f32 v13, v18, v26, -v10
	v_fmac_f32_e32 v12, v19, v26
	s_waitcnt lgkmcnt(0)
	v_fma_f32 v20, -0.5, v2, v63
	v_fma_f32 v21, -0.5, v3, v64
	v_sub_f32_e32 v2, v14, v37
	v_sub_f32_e32 v3, v61, v56
	v_fmamk_f32 v83, v51, 0x3f737871, v20
	v_fmamk_f32 v84, v57, 0xbf737871, v21
	v_fmac_f32_e32 v20, 0xbf737871, v51
	v_add_f32_e32 v42, v2, v3
	v_add_f32_e32 v2, v63, v15
	;; [unrolled: 1-line block ×3, first 2 shown]
	v_fmac_f32_e32 v83, 0x3f167918, v85
	v_fmac_f32_e32 v84, 0xbf167918, v86
	;; [unrolled: 1-line block ×3, first 2 shown]
	v_add_f32_e32 v2, v2, v38
	v_add_f32_e32 v3, v3, v37
	v_fmac_f32_e32 v83, 0x3e9e377a, v41
	v_fmac_f32_e32 v84, 0x3e9e377a, v42
	;; [unrolled: 1-line block ×3, first 2 shown]
	v_add_f32_e32 v2, v2, v60
	v_add_f32_e32 v3, v3, v56
	v_fmac_f32_e32 v21, 0x3f167918, v86
	v_fmac_f32_e32 v20, 0x3e9e377a, v41
	v_add_f32_e32 v22, v2, v62
	v_mov_b32_e32 v2, 0x8889
	v_add_f32_e32 v23, v3, v61
	v_fmac_f32_e32 v21, 0x3e9e377a, v42
	v_sub_f32_e32 v41, v6, v8
	v_sub_f32_e32 v42, v4, v12
	v_mul_u32_u24_sdwa v3, v160, v2 dst_sel:DWORD dst_unused:UNUSED_PAD src0_sel:WORD_0 src1_sel:DWORD
	v_mul_u32_u24_sdwa v10, v172, v2 dst_sel:DWORD dst_unused:UNUSED_PAD src0_sel:WORD_0 src1_sel:DWORD
	;; [unrolled: 1-line block ×4, first 2 shown]
	v_lshrrev_b32_e32 v43, 19, v3
	v_lshrrev_b32_e32 v48, 19, v10
	;; [unrolled: 1-line block ×4, first 2 shown]
	v_mul_lo_u16 v3, v43, 15
	v_sub_nc_u16 v49, v160, v3
	v_mul_lo_u16 v3, v48, 15
	v_lshlrev_b16 v16, 5, v49
	v_sub_nc_u16 v50, v172, v3
	v_mul_lo_u16 v3, v10, 15
	v_and_b32_e32 v16, 0xffff, v16
	v_lshlrev_b16 v17, 5, v50
	v_sub_nc_u16 v11, v212, v3
	v_mul_lo_u16 v3, v2, 15
	v_add_co_u32 v16, s6, s10, v16
	v_and_b32_e32 v18, 0xffff, v17
	v_sub_nc_u16 v3, v223, v3
	v_lshlrev_b16 v17, 5, v11
	v_mad_u16 v10, 0x4b, v10, v11
	v_lshlrev_b16 v26, 5, v3
	v_and_b32_e32 v24, 0xffff, v17
	v_add_co_ci_u32_e64 v17, null, s11, 0, s6
	v_add_co_u32 v18, s6, s10, v18
	v_and_b32_e32 v26, 0xffff, v26
	v_add_co_ci_u32_e64 v19, null, s11, 0, s6
	v_add_co_u32 v24, s6, s10, v24
	v_add_co_ci_u32_e64 v25, null, s11, 0, s6
	v_add_co_u32 v26, s6, s10, v26
	v_add_co_ci_u32_e64 v27, null, s11, 0, s6
	s_clause 0x7
	global_load_dwordx4 v[156:159], v[16:17], off offset:96
	global_load_dwordx4 v[148:151], v[16:17], off offset:112
	;; [unrolled: 1-line block ×8, first 2 shown]
	ds_read2_b64 v[52:55], v217 offset0:122 offset1:247
	ds_read2_b64 v[67:70], v108 offset0:104 offset1:229
	;; [unrolled: 1-line block ×10, first 2 shown]
	s_waitcnt vmcnt(0) lgkmcnt(0)
	s_waitcnt_vscnt null, 0x0
	s_barrier
	buffer_gl0_inv
	ds_write2_b64 v87, v[22:23], v[83:84] offset1:15
	v_sub_f32_e32 v22, v38, v15
	v_sub_f32_e32 v23, v60, v62
	v_add_f32_e32 v15, v15, v62
	ds_write_b64 v87, v[20:21] offset:480
	v_add_lshl_u32 v83, v0, v1, 3
	v_mad_u16 v2, 0x4b, v2, v3
	v_add_f32_e32 v38, v22, v23
	v_add_f32_e32 v23, v14, v61
	v_fma_f32 v22, -0.5, v15, v63
	v_sub_f32_e32 v15, v37, v14
	v_sub_f32_e32 v37, v56, v61
	v_lshlrev_b32_sdwa v2, v211, v2 dst_sel:DWORD dst_unused:UNUSED_PAD src0_sel:DWORD src1_sel:WORD_0
	v_fma_f32 v23, -0.5, v23, v64
	v_fmamk_f32 v14, v85, 0xbf737871, v22
	v_fmac_f32_e32 v22, 0x3f737871, v85
	v_add_f32_e32 v37, v15, v37
	buffer_store_dword v87, off, s[20:23], 0 offset:444 ; 4-byte Folded Spill
	v_fmamk_f32 v15, v86, 0x3f737871, v23
	v_fmac_f32_e32 v23, 0xbf737871, v86
	v_fmac_f32_e32 v14, 0x3f167918, v51
	;; [unrolled: 1-line block ×3, first 2 shown]
	v_sub_f32_e32 v51, v5, v13
	v_fmac_f32_e32 v15, 0xbf167918, v57
	v_fmac_f32_e32 v23, 0x3f167918, v57
	;; [unrolled: 1-line block ×4, first 2 shown]
	buffer_store_dword v83, off, s[20:23], 0 offset:496 ; 4-byte Folded Spill
	v_fmac_f32_e32 v15, 0x3e9e377a, v37
	v_fmac_f32_e32 v23, 0x3e9e377a, v37
	v_sub_f32_e32 v37, v8, v12
	v_mov_b32_e32 v98, v97
	v_mov_b32_e32 v97, v163
	v_mov_b32_e32 v85, v124
	ds_write2_b64 v87, v[14:15], v[22:23] offset0:30 offset1:45
	v_add_f32_e32 v14, v7, v9
	v_add_f32_e32 v15, v5, v13
	;; [unrolled: 1-line block ×4, first 2 shown]
	v_mov_b32_e32 v84, v98
	v_fma_f32 v20, -0.5, v14, v65
	v_fma_f32 v65, -0.5, v15, v65
	v_sub_f32_e32 v14, v7, v5
	v_sub_f32_e32 v15, v9, v13
	v_add_f32_e32 v22, v22, v7
	v_sub_f32_e32 v5, v5, v7
	v_add_f32_e32 v7, v23, v6
	v_add_f32_e32 v15, v14, v15
	v_fmamk_f32 v14, v41, 0xbf737871, v65
	v_fmac_f32_e32 v65, 0x3f737871, v41
	v_add_f32_e32 v22, v22, v9
	v_add_f32_e32 v7, v7, v8
	v_sub_f32_e32 v9, v13, v9
	v_fmac_f32_e32 v14, 0x3f167918, v42
	v_fmac_f32_e32 v65, 0xbf167918, v42
	v_add_f32_e32 v22, v22, v13
	v_add_f32_e32 v23, v7, v12
	;; [unrolled: 1-line block ×3, first 2 shown]
	v_fmac_f32_e32 v14, 0x3e9e377a, v15
	v_fmac_f32_e32 v65, 0x3e9e377a, v15
	v_add_f32_e32 v15, v6, v8
	v_fma_f32 v21, -0.5, v15, v66
	v_add_f32_e32 v15, v4, v12
	v_fmamk_f32 v5, v51, 0xbf737871, v21
	v_fmac_f32_e32 v66, -0.5, v15
	v_sub_f32_e32 v15, v6, v4
	v_sub_f32_e32 v4, v4, v6
	;; [unrolled: 1-line block ×3, first 2 shown]
	v_fmac_f32_e32 v5, 0xbf167918, v40
	v_fmac_f32_e32 v21, 0x3f737871, v51
	v_add_f32_e32 v37, v15, v37
	v_fmamk_f32 v15, v40, 0x3f737871, v66
	v_fmac_f32_e32 v66, 0xbf737871, v40
	v_add_f32_e32 v6, v4, v6
	v_fmamk_f32 v4, v42, 0x3f737871, v20
	v_fmac_f32_e32 v20, 0xbf737871, v42
	v_fmac_f32_e32 v15, 0xbf167918, v51
	;; [unrolled: 1-line block ×11, first 2 shown]
	ds_write2_b64 v83, v[14:15], v[65:66] offset0:30 offset1:45
	v_fmac_f32_e32 v21, 0x3e9e377a, v6
	ds_write2_b64 v83, v[22:23], v[4:5] offset1:15
	ds_write_b64 v83, v[20:21] offset:480
	v_mad_u16 v20, 0x4b, v43, v49
	v_lshlrev_b32_sdwa v20, v211, v20 dst_sel:DWORD dst_unused:UNUSED_PAD src0_sel:DWORD src1_sel:WORD_0
	v_mov_b32_e32 v42, v20
	buffer_store_dword v42, off, s[20:23], 0 offset:368 ; 4-byte Folded Spill
	v_mul_f32_e32 v0, v68, v157
	v_mul_f32_e32 v14, v72, v159
	;; [unrolled: 1-line block ×6, first 2 shown]
	v_fma_f32 v56, v67, v156, -v0
	v_mul_f32_e32 v57, v67, v157
	v_fma_f32 v60, v71, v158, -v14
	v_fmac_f32_e32 v61, v72, v158
	v_fma_f32 v62, v75, v148, -v37
	v_fmac_f32_e32 v63, v76, v148
	v_fma_f32 v64, v79, v150, -v64
	v_mul_f32_e32 v65, v79, v151
	v_fmac_f32_e32 v57, v68, v156
	v_sub_f32_e32 v4, v56, v60
	v_add_f32_e32 v6, v60, v62
	v_sub_f32_e32 v5, v64, v62
	v_fmac_f32_e32 v65, v80, v150
	v_add_f32_e32 v7, v61, v63
	v_sub_f32_e32 v8, v57, v61
	v_fma_f32 v6, -0.5, v6, v52
	v_add_f32_e32 v12, v4, v5
	v_add_f32_e32 v4, v52, v56
	;; [unrolled: 1-line block ×3, first 2 shown]
	v_fma_f32 v7, -0.5, v7, v53
	v_sub_f32_e32 v9, v65, v63
	v_sub_f32_e32 v21, v57, v65
	;; [unrolled: 1-line block ×3, first 2 shown]
	v_add_f32_e32 v4, v4, v60
	v_add_f32_e32 v5, v5, v61
	;; [unrolled: 1-line block ×3, first 2 shown]
	v_sub_f32_e32 v22, v61, v63
	v_fmamk_f32 v8, v21, 0x3f737871, v6
	v_fmamk_f32 v9, v23, 0xbf737871, v7
	v_sub_f32_e32 v40, v60, v62
	v_add_f32_e32 v4, v4, v62
	v_add_f32_e32 v5, v5, v63
	v_fmac_f32_e32 v8, 0x3f167918, v22
	v_sub_f32_e32 v41, v63, v65
	v_fmac_f32_e32 v9, 0xbf167918, v40
	v_add_f32_e32 v4, v4, v64
	v_add_f32_e32 v5, v5, v65
	v_fmac_f32_e32 v8, 0x3e9e377a, v12
	v_mul_f32_e32 v0, v70, v153
	v_fmac_f32_e32 v9, 0x3e9e377a, v13
	v_mul_f32_e32 v14, v74, v155
	v_mul_f32_e32 v37, v78, v145
	v_mul_f32_e32 v66, v82, v147
	v_fmac_f32_e32 v6, 0xbf737871, v21
	ds_write2_b64 v20, v[4:5], v[8:9] offset1:15
	v_sub_f32_e32 v4, v60, v56
	v_sub_f32_e32 v5, v62, v64
	v_add_f32_e32 v8, v56, v64
	v_sub_f32_e32 v20, v61, v57
	v_fmac_f32_e32 v7, 0x3f737871, v23
	v_fma_f32 v1, v69, v152, -v0
	v_add_f32_e32 v9, v4, v5
	v_fma_f32 v4, -0.5, v8, v52
	v_add_f32_e32 v5, v57, v65
	v_add_f32_e32 v20, v20, v41
	v_fma_f32 v15, v73, v154, -v14
	v_mul_f32_e32 v14, v73, v155
	v_fmamk_f32 v8, v22, 0xbf737871, v4
	v_fmac_f32_e32 v4, 0x3f737871, v22
	v_fma_f32 v5, -0.5, v5, v53
	v_fma_f32 v38, v77, v144, -v37
	v_mul_f32_e32 v37, v77, v145
	v_fmac_f32_e32 v8, 0x3f167918, v21
	v_fmac_f32_e32 v4, 0xbf167918, v21
	v_fma_f32 v66, v81, v146, -v66
	v_fmac_f32_e32 v6, 0xbf167918, v22
	v_fmac_f32_e32 v7, 0x3f167918, v40
	v_fmac_f32_e32 v8, 0x3e9e377a, v9
	v_fmac_f32_e32 v4, 0x3e9e377a, v9
	v_fmamk_f32 v9, v40, 0x3f737871, v5
	v_fmac_f32_e32 v5, 0xbf737871, v40
	v_mul_f32_e32 v0, v69, v153
	v_fmac_f32_e32 v14, v74, v154
	v_fmac_f32_e32 v37, v78, v144
	;; [unrolled: 1-line block ×4, first 2 shown]
	v_mul_f32_e32 v67, v81, v147
	v_fmac_f32_e32 v6, 0x3e9e377a, v12
	v_fmac_f32_e32 v7, 0x3e9e377a, v13
	;; [unrolled: 1-line block ×6, first 2 shown]
	ds_write_b64 v42, v[6:7] offset:480
	v_sub_f32_e32 v6, v38, v66
	ds_write2_b64 v42, v[8:9], v[4:5] offset0:30 offset1:45
	v_add_f32_e32 v4, v15, v38
	v_add_f32_e32 v5, v1, v66
	v_add_f32_e32 v8, v54, v1
	v_sub_f32_e32 v9, v14, v37
	v_sub_f32_e32 v12, v0, v67
	v_fma_f32 v4, -0.5, v4, v54
	v_fma_f32 v54, -0.5, v5, v54
	v_sub_f32_e32 v5, v15, v1
	v_add_f32_e32 v7, v0, v67
	v_add_f32_e32 v13, v55, v0
	v_sub_f32_e32 v20, v37, v67
	v_sub_f32_e32 v22, v15, v38
	v_add_f32_e32 v5, v5, v6
	v_fmamk_f32 v6, v9, 0xbf737871, v54
	v_fmac_f32_e32 v54, 0x3f737871, v9
	v_sub_f32_e32 v23, v1, v66
	v_mad_u16 v21, 0x4b, v48, v50
	v_sub_f32_e32 v1, v1, v15
	v_fmac_f32_e32 v6, 0x3f167918, v12
	v_fmac_f32_e32 v54, 0xbf167918, v12
	v_mul_f32_e32 v41, v46, v137
	v_lshlrev_b32_sdwa v43, v211, v21 dst_sel:DWORD dst_unused:UNUSED_PAD src0_sel:DWORD src1_sel:WORD_0
	v_mul_f32_e32 v21, v44, v141
	v_fmac_f32_e32 v6, 0x3e9e377a, v5
	v_fmac_f32_e32 v54, 0x3e9e377a, v5
	v_add_f32_e32 v5, v14, v37
	v_fmac_f32_e32 v41, v47, v136
	v_fmac_f32_e32 v21, v45, v140
	v_mov_b32_e32 v60, v96
	buffer_store_dword v43, off, s[20:23], 0 offset:532 ; 4-byte Folded Spill
	v_fma_f32 v5, -0.5, v5, v55
	v_fmac_f32_e32 v55, -0.5, v7
	v_sub_f32_e32 v7, v14, v0
	v_sub_f32_e32 v0, v0, v14
	buffer_store_dword v60, off, s[20:23], 0 offset:248 ; 4-byte Folded Spill
	v_mov_b32_e32 v73, v111
	v_mov_b32_e32 v77, v108
	v_add_f32_e32 v20, v7, v20
	v_fmamk_f32 v7, v22, 0x3f737871, v55
	v_fmac_f32_e32 v55, 0xbf737871, v22
	v_mov_b32_e32 v79, v109
	v_mov_b32_e32 v75, v97
	v_mov_b32_e32 v68, v162
	v_fmac_f32_e32 v7, 0xbf167918, v23
	v_fmac_f32_e32 v55, 0x3f167918, v23
	v_mov_b32_e32 v74, v161
	v_mov_b32_e32 v80, v164
	;; [unrolled: 1-line block ×3, first 2 shown]
	v_fmac_f32_e32 v7, 0x3e9e377a, v20
	v_fmac_f32_e32 v55, 0x3e9e377a, v20
	v_mov_b32_e32 v69, v217
	v_mov_b32_e32 v81, v80
	;; [unrolled: 1-line block ×3, first 2 shown]
	ds_write2_b64 v43, v[6:7], v[54:55] offset0:30 offset1:45
	v_mul_f32_e32 v6, v45, v141
	v_add_f32_e32 v7, v13, v14
	v_sub_f32_e32 v13, v67, v37
	v_mov_b32_e32 v86, v69
	v_fma_f32 v20, v44, v140, -v6
	v_mul_f32_e32 v6, v47, v137
	v_add_f32_e32 v13, v0, v13
	v_fmamk_f32 v0, v12, 0x3f737871, v4
	v_fmac_f32_e32 v4, 0xbf737871, v12
	v_add_f32_e32 v7, v7, v37
	v_fma_f32 v40, v46, v136, -v6
	v_mul_f32_e32 v6, v33, v143
	v_fmac_f32_e32 v0, 0x3f167918, v9
	v_fmac_f32_e32 v4, 0xbf167918, v9
	v_add_f32_e32 v7, v7, v67
	v_fma_f32 v42, v32, v142, -v6
	v_mul_f32_e32 v32, v32, v143
	v_mul_f32_e32 v6, v35, v139
	v_fmac_f32_e32 v32, v33, v142
	v_fma_f32 v33, v34, v138, -v6
	v_mul_f32_e32 v34, v34, v139
	v_mul_f32_e32 v6, v29, v133
	v_fmac_f32_e32 v34, v35, v138
	v_fma_f32 v35, v28, v132, -v6
	v_mul_f32_e32 v28, v28, v133
	v_mul_f32_e32 v6, v31, v129
	v_sub_f32_e32 v14, v42, v35
	v_fmac_f32_e32 v28, v29, v132
	v_fma_f32 v29, v30, v128, -v6
	v_mul_f32_e32 v30, v30, v129
	v_mul_f32_e32 v6, v25, v135
	v_sub_f32_e32 v12, v32, v28
	v_fmac_f32_e32 v30, v31, v128
	v_fma_f32 v31, v24, v134, -v6
	v_mul_f32_e32 v24, v24, v135
	v_mul_f32_e32 v6, v27, v131
	v_fmac_f32_e32 v24, v25, v134
	v_fma_f32 v25, v26, v130, -v6
	v_add_f32_e32 v6, v8, v15
	v_sub_f32_e32 v8, v66, v38
	v_mul_f32_e32 v26, v26, v131
	v_sub_f32_e32 v11, v21, v24
	v_sub_f32_e32 v15, v28, v24
	v_add_f32_e32 v6, v6, v38
	v_add_f32_e32 v8, v1, v8
	v_fmamk_f32 v1, v23, 0xbf737871, v5
	v_fmac_f32_e32 v5, 0x3f737871, v23
	v_fmac_f32_e32 v26, v27, v130
	v_add_f32_e32 v6, v6, v66
	v_fmac_f32_e32 v0, 0x3e9e377a, v8
	v_fmac_f32_e32 v1, 0xbf167918, v22
	;; [unrolled: 1-line block ×4, first 2 shown]
	v_lshlrev_b32_sdwa v22, v211, v10 dst_sel:DWORD dst_unused:UNUSED_PAD src0_sel:DWORD src1_sel:WORD_0
	v_sub_f32_e32 v10, v32, v21
	v_fmac_f32_e32 v1, 0x3e9e377a, v13
	v_fmac_f32_e32 v5, 0x3e9e377a, v13
	v_sub_f32_e32 v13, v20, v31
	buffer_store_dword v22, off, s[20:23], 0 offset:504 ; 4-byte Folded Spill
	v_add_f32_e32 v10, v10, v15
	ds_write2_b64 v43, v[6:7], v[0:1] offset1:15
	ds_write_b64 v43, v[4:5] offset:480
	v_sub_f32_e32 v0, v20, v42
	v_sub_f32_e32 v1, v31, v35
	v_add_f32_e32 v4, v42, v35
	v_add_f32_e32 v5, v32, v28
	v_sub_f32_e32 v6, v21, v32
	v_sub_f32_e32 v7, v24, v28
	v_add_f32_e32 v8, v0, v1
	v_add_f32_e32 v0, v16, v20
	;; [unrolled: 1-line block ×3, first 2 shown]
	v_fma_f32 v4, -0.5, v4, v16
	v_fma_f32 v5, -0.5, v5, v17
	v_add_f32_e32 v9, v6, v7
	v_add_f32_e32 v0, v0, v42
	;; [unrolled: 1-line block ×3, first 2 shown]
	v_fmamk_f32 v6, v11, 0x3f737871, v4
	v_fmamk_f32 v7, v13, 0xbf737871, v5
	v_fmac_f32_e32 v4, 0xbf737871, v11
	v_add_f32_e32 v0, v0, v35
	v_add_f32_e32 v1, v1, v28
	v_fmac_f32_e32 v6, 0x3f167918, v12
	v_fmac_f32_e32 v7, 0xbf167918, v14
	;; [unrolled: 1-line block ×3, first 2 shown]
	v_add_f32_e32 v0, v0, v31
	v_add_f32_e32 v1, v1, v24
	v_fmac_f32_e32 v6, 0x3e9e377a, v8
	v_fmac_f32_e32 v7, 0x3e9e377a, v9
	;; [unrolled: 1-line block ×4, first 2 shown]
	v_lshlrev_b32_e32 v66, 5, v223
	ds_write2_b64 v22, v[0:1], v[6:7] offset1:15
	v_sub_f32_e32 v0, v42, v20
	v_sub_f32_e32 v1, v35, v31
	v_add_f32_e32 v6, v20, v31
	v_fmac_f32_e32 v4, 0x3e9e377a, v8
	v_fmac_f32_e32 v5, 0x3e9e377a, v9
	v_sub_f32_e32 v8, v41, v26
	v_add_f32_e32 v7, v0, v1
	v_fma_f32 v0, -0.5, v6, v16
	v_add_f32_e32 v1, v21, v24
	ds_write_b64 v22, v[4:5] offset:480
	v_sub_f32_e32 v4, v29, v25
	v_add_f32_e32 v5, v41, v26
	v_fmamk_f32 v6, v12, 0xbf737871, v0
	v_fmac_f32_e32 v0, 0x3f737871, v12
	v_fma_f32 v1, -0.5, v1, v17
	v_add_f32_e32 v9, v19, v41
	v_sub_f32_e32 v12, v40, v25
	v_fmac_f32_e32 v6, 0x3f167918, v11
	v_fmac_f32_e32 v0, 0xbf167918, v11
	v_sub_f32_e32 v11, v33, v29
	v_add_f32_e32 v3, v9, v34
	v_sub_f32_e32 v9, v26, v30
	v_fmac_f32_e32 v6, 0x3e9e377a, v7
	v_fmac_f32_e32 v0, 0x3e9e377a, v7
	v_fmamk_f32 v7, v14, 0x3f737871, v1
	v_fmac_f32_e32 v1, 0xbf737871, v14
	v_add_f32_e32 v3, v3, v30
	v_fmac_f32_e32 v7, 0xbf167918, v13
	v_fmac_f32_e32 v1, 0x3f167918, v13
	v_mov_b32_e32 v13, v2
	v_add_f32_e32 v3, v3, v26
	v_fmac_f32_e32 v7, 0x3e9e377a, v10
	v_fmac_f32_e32 v1, 0x3e9e377a, v10
	v_sub_f32_e32 v10, v30, v26
	buffer_store_dword v13, off, s[20:23], 0 offset:500 ; 4-byte Folded Spill
	ds_write2_b64 v22, v[6:7], v[0:1] offset0:30 offset1:45
	v_add_f32_e32 v0, v33, v29
	v_add_f32_e32 v1, v40, v25
	;; [unrolled: 1-line block ×3, first 2 shown]
	v_sub_f32_e32 v7, v34, v30
	v_fma_f32 v0, -0.5, v0, v18
	v_fma_f32 v18, -0.5, v1, v18
	v_sub_f32_e32 v1, v33, v40
	v_add_f32_e32 v1, v1, v4
	v_fmamk_f32 v4, v7, 0xbf737871, v18
	v_fmac_f32_e32 v18, 0x3f737871, v7
	v_fmac_f32_e32 v4, 0x3f167918, v8
	;; [unrolled: 1-line block ×5, first 2 shown]
	v_add_f32_e32 v1, v34, v30
	v_fma_f32 v1, -0.5, v1, v19
	v_fmac_f32_e32 v19, -0.5, v5
	v_sub_f32_e32 v5, v34, v41
	v_add_f32_e32 v10, v5, v10
	v_fmamk_f32 v5, v11, 0x3f737871, v19
	v_fmac_f32_e32 v19, 0xbf737871, v11
	v_fmac_f32_e32 v5, 0xbf167918, v12
	;; [unrolled: 1-line block ×5, first 2 shown]
	ds_write2_b64 v2, v[4:5], v[18:19] offset0:30 offset1:45
	v_sub_f32_e32 v4, v40, v33
	v_sub_f32_e32 v5, v25, v29
	v_add_f32_e32 v2, v6, v33
	v_sub_f32_e32 v6, v41, v34
	v_add_f32_e32 v10, v4, v5
	v_fmamk_f32 v4, v8, 0x3f737871, v0
	v_fmamk_f32 v5, v12, 0xbf737871, v1
	v_fmac_f32_e32 v0, 0xbf737871, v8
	v_fmac_f32_e32 v1, 0x3f737871, v12
	v_add_f32_e32 v6, v6, v9
	v_fmac_f32_e32 v4, 0x3f167918, v7
	v_add_f32_e32 v2, v2, v29
	v_fmac_f32_e32 v0, 0xbf167918, v7
	v_fmac_f32_e32 v1, 0x3f167918, v11
	;; [unrolled: 1-line block ×4, first 2 shown]
	v_add_f32_e32 v2, v2, v25
	v_fmac_f32_e32 v0, 0x3e9e377a, v10
	v_fmac_f32_e32 v1, 0x3e9e377a, v6
	;; [unrolled: 1-line block ×3, first 2 shown]
	ds_write_b64 v13, v[0:1] offset:480
	v_add_nc_u32_e32 v0, 0xffffffb5, v96
	ds_write2_b64 v13, v[2:3], v[4:5] offset1:15
	s_waitcnt lgkmcnt(0)
	s_waitcnt_vscnt null, 0x0
	s_barrier
	buffer_gl0_inv
	v_cndmask_b32_e32 v167, v0, v96, vcc_lo
	v_mul_i32_i24_e32 v0, 0x48, v167
	v_mul_hi_i32_i24_e32 v1, 0x48, v167
	v_add_co_u32 v7, vcc_lo, s10, v0
	v_mul_lo_u16 v0, 0xdb, v59
	v_add_co_ci_u32_e32 v8, vcc_lo, s11, v1, vcc_lo
	v_cmp_lt_u16_e32 vcc_lo, 0x4a, v170
	v_lshrrev_b16 v24, 14, v0
	s_clause 0x1
	global_load_dwordx4 v[40:43], v[7:8], off offset:576
	global_load_dwordx4 v[25:28], v[7:8], off offset:592
	v_mul_lo_u16 v0, 0x4b, v24
	v_sub_nc_u16 v0, v39, v0
	v_and_b32_e32 v171, 0xff, v0
	ds_read2_b64 v[0:3], v126 offset0:110 offset1:235
	v_mad_u64_u32 v[11:12], null, 0x48, v171, s[10:11]
	s_clause 0x1
	global_load_dwordx2 v[21:22], v[7:8], off offset:640
	global_load_dwordx4 v[249:252], v[11:12], off offset:576
	s_waitcnt vmcnt(3) lgkmcnt(0)
	v_mul_f32_e32 v4, v1, v43
	v_mul_f32_e32 v179, v0, v43
	v_fma_f32 v185, v0, v42, -v4
	v_fmac_f32_e32 v179, v1, v42
	s_waitcnt vmcnt(0)
	v_mul_f32_e32 v0, v3, v252
	v_mul_f32_e32 v177, v2, v252
	v_fma_f32 v178, v2, v251, -v0
	v_fmac_f32_e32 v177, v3, v251
	ds_read2_b64 v[0:3], v161 offset0:92 offset1:217
	s_clause 0x3
	global_load_dwordx4 v[241:244], v[11:12], off offset:592
	global_load_dwordx4 v[233:236], v[11:12], off offset:608
	;; [unrolled: 1-line block ×4, first 2 shown]
	s_waitcnt lgkmcnt(0)
	v_mul_f32_e32 v4, v1, v28
	v_mul_f32_e32 v5, v0, v28
	v_fma_f32 v6, v0, v27, -v4
	v_fmac_f32_e32 v5, v1, v27
	s_waitcnt vmcnt(3)
	v_mul_f32_e32 v0, v3, v244
	v_mul_f32_e32 v180, v2, v244
	v_fma_f32 v182, v2, v243, -v0
	v_fmac_f32_e32 v180, v3, v243
	ds_read2_b64 v[0:3], v127 offset0:74 offset1:199
	s_waitcnt vmcnt(1) lgkmcnt(0)
	v_mul_f32_e32 v4, v1, v240
	v_mul_f32_e32 v7, v0, v240
	;; [unrolled: 1-line block ×3, first 2 shown]
	v_fma_f32 v9, v0, v239, -v4
	v_mul_f32_e32 v0, v3, v236
	v_fmac_f32_e32 v7, v1, v239
	v_fmac_f32_e32 v186, v3, v235
	v_sub_f32_e32 v56, v6, v9
	v_fma_f32 v187, v2, v235, -v0
	ds_read2_b64 v[1:4], v111 offset0:56 offset1:181
	s_clause 0x1
	global_load_dwordx2 v[34:35], v[11:12], off offset:640
	global_load_dwordx4 v[199:202], v[11:12], off offset:624
	ds_read2_b64 v[11:14], v162 offset0:116 offset1:241
	v_sub_f32_e32 v52, v5, v7
	v_add_f32_e32 v23, v5, v7
	s_waitcnt vmcnt(2) lgkmcnt(1)
	v_mul_f32_e32 v0, v2, v228
	s_waitcnt lgkmcnt(0)
	v_mul_f32_e32 v184, v11, v250
	v_fma_f32 v10, v1, v227, -v0
	v_mul_f32_e32 v1, v1, v228
	v_fmac_f32_e32 v184, v12, v249
	v_sub_f32_e32 v54, v185, v10
	v_fmac_f32_e32 v1, v2, v227
	v_sub_f32_e32 v50, v179, v1
	s_waitcnt vmcnt(0)
	v_mul_f32_e32 v0, v4, v202
	v_mul_f32_e32 v188, v3, v202
	v_fma_f32 v189, v3, v201, -v0
	v_mov_b32_e32 v0, 0xb4e9
	v_fmac_f32_e32 v188, v4, v201
	v_mul_u32_u24_sdwa v0, v160, v0 dst_sel:DWORD dst_unused:UNUSED_PAD src0_sel:WORD_0 src1_sel:DWORD
	v_lshrrev_b32_e32 v0, 16, v0
	v_sub_nc_u16 v2, v160, v0
	v_lshrrev_b16 v2, 1, v2
	v_add_nc_u16 v0, v2, v0
	v_mul_f32_e32 v2, v12, v250
	v_lshrrev_b16 v224, 6, v0
	v_fma_f32 v181, v11, v249, -v2
	v_mul_lo_u16 v0, 0x4b, v224
	v_sub_nc_u16 v183, v160, v0
	v_mul_lo_u16 v0, 0x48, v183
	v_and_b32_e32 v0, 0xffff, v0
	v_add_co_u32 v19, s6, s10, v0
	v_add_co_ci_u32_e64 v20, null, s11, 0, s6
	s_clause 0x1
	global_load_dwordx4 v[229:232], v[19:20], off offset:576
	global_load_dwordx4 v[213:216], v[19:20], off offset:592
	s_waitcnt vmcnt(1)
	v_mul_f32_e32 v0, v14, v230
	v_mul_f32_e32 v33, v13, v230
	v_fma_f32 v32, v13, v229, -v0
	v_fmac_f32_e32 v33, v14, v229
	ds_read2_b64 v[12:15], v108 offset0:104 offset1:229
	buffer_store_dword v25, off, s[20:23], 0 offset:480 ; 4-byte Folded Spill
	buffer_store_dword v26, off, s[20:23], 0 offset:484 ; 4-byte Folded Spill
	;; [unrolled: 1-line block ×4, first 2 shown]
	ds_read2_b64 v[28:31], v97 offset0:80 offset1:205
	s_waitcnt lgkmcnt(1)
	v_mul_f32_e32 v46, v12, v232
	s_waitcnt lgkmcnt(0)
	v_mul_f32_e32 v255, v28, v234
	v_fmac_f32_e32 v46, v13, v231
	v_fmac_f32_e32 v255, v29, v233
	v_mul_f32_e32 v0, v15, v26
	v_mul_f32_e32 v11, v14, v26
	v_fma_f32 v4, v14, v25, -v0
	v_mul_f32_e32 v0, v13, v232
	v_fmac_f32_e32 v11, v15, v25
	v_fma_f32 v47, v12, v231, -v0
	ds_read2_b64 v[12:15], v98 offset0:98 offset1:223
	s_waitcnt lgkmcnt(0)
	v_mul_f32_e32 v0, v13, v242
	s_waitcnt vmcnt(0)
	v_mul_f32_e32 v44, v14, v214
	v_mul_f32_e32 v190, v12, v242
	v_fma_f32 v191, v12, v241, -v0
	v_mul_f32_e32 v0, v15, v214
	v_fmac_f32_e32 v44, v15, v213
	ds_read2_b64 v[15:18], v109 offset0:86 offset1:211
	s_clause 0x1
	global_load_dwordx4 v[96:99], v[19:20], off offset:608
	global_load_dwordx4 v[108:111], v[19:20], off offset:624
	v_fmac_f32_e32 v190, v13, v241
	v_fma_f32 v45, v14, v213, -v0
	s_waitcnt lgkmcnt(0)
	v_mul_f32_e32 v0, v18, v238
	v_mul_f32_e32 v162, v15, v216
	v_mul_f32_e32 v13, v17, v238
	v_fma_f32 v14, v17, v237, -v0
	v_mul_f32_e32 v0, v16, v216
	v_fmac_f32_e32 v162, v16, v215
	v_fmac_f32_e32 v13, v18, v237
	v_fma_f32 v163, v15, v215, -v0
	v_mul_f32_e32 v0, v29, v234
	v_fma_f32 v16, v28, v233, -v0
	s_waitcnt vmcnt(1)
	v_mul_f32_e32 v0, v31, v97
	v_mul_f32_e32 v59, v30, v97
	v_fma_f32 v161, v30, v96, -v0
	v_fmac_f32_e32 v59, v31, v96
	ds_read2_b64 v[28:31], v164 offset0:68 offset1:193
	s_waitcnt lgkmcnt(0)
	v_mul_f32_e32 v0, v31, v226
	v_mul_f32_e32 v15, v30, v226
	;; [unrolled: 1-line block ×3, first 2 shown]
	v_fma_f32 v218, v30, v225, -v0
	v_mul_f32_e32 v0, v29, v99
	v_fmac_f32_e32 v15, v31, v225
	v_fmac_f32_e32 v166, v29, v98
	v_sub_f32_e32 v38, v14, v218
	v_fma_f32 v18, v28, v98, -v0
	ds_read2_b64 v[28:31], v124 offset0:62 offset1:187
	s_waitcnt lgkmcnt(0)
	v_mul_f32_e32 v0, v29, v200
	v_mul_f32_e32 v2, v28, v200
	s_waitcnt vmcnt(0)
	v_mul_f32_e32 v164, v30, v109
	v_fma_f32 v12, v28, v199, -v0
	v_mul_f32_e32 v0, v31, v109
	v_fmac_f32_e32 v2, v29, v199
	v_fmac_f32_e32 v164, v31, v108
	v_fma_f32 v165, v30, v108, -v0
	ds_read2_b64 v[28:31], v168 offset0:50 offset1:175
	buffer_store_dword v21, off, s[20:23], 0 offset:508 ; 4-byte Folded Spill
	buffer_store_dword v22, off, s[20:23], 0 offset:512 ; 4-byte Folded Spill
	global_load_dwordx2 v[19:20], v[19:20], off offset:640
	s_waitcnt lgkmcnt(0)
	v_mul_f32_e32 v3, v29, v111
	v_mul_f32_e32 v175, v28, v111
	v_fma_f32 v176, v28, v110, -v3
	v_fmac_f32_e32 v175, v29, v110
	v_mul_f32_e32 v0, v31, v22
	v_fma_f32 v17, v30, v21, -v0
	v_mul_f32_e32 v0, v30, v22
	v_fmac_f32_e32 v0, v31, v21
	s_waitcnt vmcnt(0)
	v_mov_b32_e32 v21, v20
	ds_read2_b64 v[28:31], v125 offset0:44 offset1:169
	buffer_store_dword v34, off, s[20:23], 0 offset:524 ; 4-byte Folded Spill
	buffer_store_dword v35, off, s[20:23], 0 offset:528 ; 4-byte Folded Spill
	v_mov_b32_e32 v20, v19
	buffer_store_dword v20, off, s[20:23], 0 offset:516 ; 4-byte Folded Spill
	buffer_store_dword v21, off, s[20:23], 0 offset:520 ; 4-byte Folded Spill
	s_waitcnt lgkmcnt(0)
	v_mul_f32_e32 v3, v29, v35
	v_fma_f32 v8, v28, v34, -v3
	v_mul_f32_e32 v3, v28, v35
	v_mul_f32_e32 v19, v31, v21
	;; [unrolled: 1-line block ×3, first 2 shown]
	v_fmac_f32_e32 v3, v29, v34
	v_fma_f32 v174, v30, v20, -v19
	v_fmac_f32_e32 v173, v31, v20
	ds_read2_b64 v[28:31], v217 offset0:122 offset1:247
	buffer_store_dword v40, off, s[20:23], 0 offset:552 ; 4-byte Folded Spill
	buffer_store_dword v41, off, s[20:23], 0 offset:556 ; 4-byte Folded Spill
	;; [unrolled: 1-line block ×4, first 2 shown]
	v_sub_f32_e32 v19, v185, v6
	v_sub_f32_e32 v20, v10, v9
	v_add_f32_e32 v37, v19, v20
	v_sub_f32_e32 v19, v179, v5
	v_sub_f32_e32 v20, v1, v7
	v_add_f32_e32 v35, v19, v20
	;; [unrolled: 3-line block ×4, first 2 shown]
	s_waitcnt lgkmcnt(0)
	v_mul_f32_e32 v20, v31, v41
	v_mul_f32_e32 v26, v30, v41
	v_sub_f32_e32 v41, v13, v15
	v_fma_f32 v25, v30, v40, -v20
	v_add_f32_e32 v20, v14, v218
	v_fmac_f32_e32 v26, v31, v40
	v_sub_f32_e32 v40, v11, v0
	v_sub_f32_e32 v31, v4, v17
	v_fma_f32 v27, -0.5, v20, v25
	v_add_f32_e32 v20, v13, v15
	v_add_f32_e32 v22, v26, v11
	v_fmamk_f32 v21, v40, 0x3f737871, v27
	v_fma_f32 v30, -0.5, v20, v26
	v_add_f32_e32 v22, v22, v13
	v_fmac_f32_e32 v27, 0xbf737871, v40
	v_fmac_f32_e32 v21, 0x3f167918, v41
	v_fmamk_f32 v20, v31, 0xbf737871, v30
	v_add_f32_e32 v22, v22, v15
	v_fmac_f32_e32 v30, 0x3f737871, v31
	v_fmac_f32_e32 v27, 0xbf167918, v41
	;; [unrolled: 1-line block ×4, first 2 shown]
	v_add_f32_e32 v194, v22, v0
	v_fmac_f32_e32 v30, 0x3f167918, v38
	v_fmac_f32_e32 v27, 0x3e9e377a, v34
	v_mul_f32_e32 v43, 0xbf167918, v21
	v_fmac_f32_e32 v20, 0x3e9e377a, v19
	v_sub_f32_e32 v34, v182, v187
	v_fmac_f32_e32 v30, 0x3e9e377a, v19
	v_mul_f32_e32 v42, 0x3f167918, v20
	v_fmac_f32_e32 v43, 0x3f4f1bbd, v20
	v_cndmask_b32_e64 v20, 0, 0x2ee, vcc_lo
	v_mul_f32_e32 v19, 0xbf4f1bbd, v30
	v_fmac_f32_e32 v42, 0x3f4f1bbd, v21
	v_add_f32_e32 v21, v25, v4
	v_add_lshl_u32 v61, v167, v20, 3
	ds_read2_b64 v[167:170], v192 offset1:125
	v_fmac_f32_e32 v19, 0xbf167918, v27
	s_waitcnt lgkmcnt(0)
	s_waitcnt_vscnt null, 0x0
	v_add_f32_e32 v21, v21, v14
	s_barrier
	buffer_gl0_inv
	buffer_store_dword v61, off, s[20:23], 0 offset:420 ; 4-byte Folded Spill
	v_add_f32_e32 v21, v21, v218
	v_add_f32_e32 v193, v21, v17
	v_add_f32_e32 v20, v167, v185
	v_fma_f32 v53, -0.5, v23, v168
	v_add_f32_e32 v20, v20, v6
	v_fmamk_f32 v55, v54, 0xbf737871, v53
	v_fmac_f32_e32 v53, 0x3f737871, v54
	v_add_f32_e32 v20, v20, v9
	v_fmac_f32_e32 v55, 0xbf167918, v56
	v_fmac_f32_e32 v53, 0x3f167918, v56
	v_add_f32_e32 v48, v20, v10
	v_add_f32_e32 v20, v6, v9
	v_sub_f32_e32 v6, v6, v185
	v_sub_f32_e32 v9, v9, v10
	v_add_f32_e32 v10, v185, v10
	v_fmac_f32_e32 v55, 0x3e9e377a, v35
	v_fma_f32 v49, -0.5, v20, v167
	v_add_f32_e32 v20, v168, v179
	v_add_f32_e32 v6, v6, v9
	v_fma_f32 v9, -0.5, v10, v167
	v_add_f32_e32 v23, v55, v43
	v_fmamk_f32 v51, v50, 0x3f737871, v49
	v_add_f32_e32 v20, v20, v5
	v_sub_f32_e32 v5, v5, v179
	v_fmamk_f32 v10, v52, 0xbf737871, v9
	v_fmac_f32_e32 v9, 0x3f737871, v52
	v_fmac_f32_e32 v51, 0x3f167918, v52
	v_add_f32_e32 v20, v20, v7
	v_fmac_f32_e32 v49, 0xbf737871, v50
	v_fmac_f32_e32 v10, 0x3f167918, v50
	;; [unrolled: 1-line block ×4, first 2 shown]
	v_add_f32_e32 v57, v20, v1
	v_fmac_f32_e32 v49, 0xbf167918, v52
	v_fmac_f32_e32 v10, 0x3e9e377a, v6
	;; [unrolled: 1-line block ×3, first 2 shown]
	v_sub_f32_e32 v6, v7, v1
	v_add_f32_e32 v1, v179, v1
	v_sub_f32_e32 v7, v218, v17
	v_add_f32_e32 v20, v48, v193
	v_add_f32_e32 v21, v57, v194
	;; [unrolled: 1-line block ×3, first 2 shown]
	v_sub_f32_e32 v6, v14, v4
	v_fma_f32 v14, -0.5, v1, v168
	v_add_f32_e32 v4, v4, v17
	v_add_f32_e32 v22, v51, v42
	v_fmac_f32_e32 v49, 0x3e9e377a, v37
	v_add_f32_e32 v1, v6, v7
	v_fmamk_f32 v17, v56, 0x3f737871, v14
	v_fmac_f32_e32 v14, 0xbf737871, v56
	v_fmac_f32_e32 v25, -0.5, v4
	v_add_f32_e32 v4, v11, v0
	v_sub_f32_e32 v0, v15, v0
	v_fmac_f32_e32 v17, 0xbf167918, v54
	v_fmac_f32_e32 v14, 0x3f167918, v54
	v_mul_f32_e32 v15, 0xbf4f1bbd, v27
	v_fmac_f32_e32 v26, -0.5, v4
	v_sub_f32_e32 v4, v13, v11
	v_fmac_f32_e32 v17, 0x3e9e377a, v5
	v_fmac_f32_e32 v14, 0x3e9e377a, v5
	v_fmamk_f32 v5, v41, 0xbf737871, v25
	v_fmac_f32_e32 v25, 0x3f737871, v41
	v_add_f32_e32 v0, v4, v0
	v_fmac_f32_e32 v53, 0x3e9e377a, v35
	v_fmac_f32_e32 v15, 0x3f167918, v30
	;; [unrolled: 1-line block ×4, first 2 shown]
	ds_write2_b64 v61, v[20:21], v[22:23] offset1:75
	v_add_nc_u32_e32 v20, 0x800, v61
	v_sub_f32_e32 v30, v178, v189
	v_fmac_f32_e32 v5, 0x3e9e377a, v1
	v_fmac_f32_e32 v25, 0x3e9e377a, v1
	v_fmamk_f32 v1, v38, 0x3f737871, v26
	v_fmac_f32_e32 v26, 0xbf737871, v38
	buffer_store_dword v20, off, s[20:23], 0 offset:332 ; 4-byte Folded Spill
	v_mul_f32_e32 v7, 0xbf737871, v5
	v_mul_f32_e32 v11, 0xbe9e377a, v25
	v_fmac_f32_e32 v1, 0xbf167918, v31
	v_fmac_f32_e32 v26, 0x3f167918, v31
	v_sub_f32_e32 v40, v186, v188
	v_fmac_f32_e32 v1, 0x3e9e377a, v0
	v_fmac_f32_e32 v26, 0x3e9e377a, v0
	v_mul_f32_e32 v6, 0x3f737871, v1
	v_mul_f32_e32 v13, 0xbe9e377a, v26
	v_fmac_f32_e32 v7, 0x3e9e377a, v1
	v_fmac_f32_e32 v11, 0x3f737871, v26
	v_sub_f32_e32 v26, v180, v186
	v_fmac_f32_e32 v6, 0x3e9e377a, v5
	v_fmac_f32_e32 v13, 0xbf737871, v25
	v_add_f32_e32 v1, v17, v7
	v_add_f32_e32 v4, v9, v11
	;; [unrolled: 1-line block ×4, first 2 shown]
	ds_write2_b64 v61, v[0:1], v[4:5] offset0:150 offset1:225
	v_sub_f32_e32 v0, v48, v193
	v_sub_f32_e32 v1, v57, v194
	v_add_f32_e32 v4, v49, v15
	v_add_f32_e32 v5, v53, v19
	ds_write2_b64 v20, v[4:5], v[0:1] offset0:44 offset1:119
	v_sub_f32_e32 v0, v51, v42
	v_sub_f32_e32 v1, v55, v43
	;; [unrolled: 1-line block ×4, first 2 shown]
	v_add_nc_u32_e32 v6, 0xc00, v61
	v_sub_f32_e32 v17, v190, v3
	buffer_store_dword v6, off, s[20:23], 0 offset:336 ; 4-byte Folded Spill
	ds_write2_b64 v6, v[0:1], v[4:5] offset0:66 offset1:141
	v_sub_f32_e32 v0, v9, v11
	v_sub_f32_e32 v1, v14, v13
	;; [unrolled: 1-line block ×4, first 2 shown]
	v_add_nc_u32_e32 v6, 0x1000, v61
	v_sub_f32_e32 v14, v191, v8
	v_sub_f32_e32 v15, v16, v12
	;; [unrolled: 1-line block ×3, first 2 shown]
	ds_write2_b64 v6, v[0:1], v[4:5] offset0:88 offset1:163
	v_sub_f32_e32 v0, v178, v182
	v_sub_f32_e32 v1, v189, v187
	buffer_store_dword v6, off, s[20:23], 0 offset:340 ; 4-byte Folded Spill
	v_add_f32_e32 v5, v180, v186
	v_add_f32_e32 v6, v0, v1
	v_sub_f32_e32 v0, v177, v180
	v_sub_f32_e32 v1, v188, v186
	v_fma_f32 v27, -0.5, v5, v170
	v_add_f32_e32 v7, v0, v1
	v_sub_f32_e32 v0, v191, v16
	v_sub_f32_e32 v1, v8, v12
	v_fmamk_f32 v31, v30, 0xbf737871, v27
	v_fmac_f32_e32 v27, 0x3f737871, v30
	v_add_f32_e32 v9, v0, v1
	v_sub_f32_e32 v0, v190, v255
	v_sub_f32_e32 v1, v3, v2
	v_fmac_f32_e32 v31, 0xbf167918, v34
	v_fmac_f32_e32 v27, 0x3f167918, v34
	v_add_f32_e32 v10, v0, v1
	v_add_f32_e32 v1, v16, v12
	v_mov_b32_e32 v0, 0x2ee
	v_fmac_f32_e32 v31, 0x3e9e377a, v7
	v_fmac_f32_e32 v27, 0x3e9e377a, v7
	v_fma_f32 v11, -0.5, v1, v181
	v_add_f32_e32 v1, v255, v2
	v_mul_u32_u24_sdwa v0, v24, v0 dst_sel:DWORD dst_unused:UNUSED_PAD src0_sel:WORD_0 src1_sel:DWORD
	v_sub_f32_e32 v24, v177, v188
	v_fmamk_f32 v4, v17, 0x3f737871, v11
	v_fma_f32 v13, -0.5, v1, v184
	v_add_lshl_u32 v42, v0, v171, 3
	v_add_f32_e32 v0, v169, v178
	v_fmac_f32_e32 v11, 0xbf737871, v17
	v_fmac_f32_e32 v4, 0x3f167918, v19
	v_fmamk_f32 v1, v14, 0xbf737871, v13
	v_fmac_f32_e32 v13, 0x3f737871, v14
	v_add_f32_e32 v0, v0, v182
	v_fmac_f32_e32 v11, 0xbf167918, v19
	v_fmac_f32_e32 v4, 0x3e9e377a, v9
	;; [unrolled: 1-line block ×4, first 2 shown]
	v_add_f32_e32 v0, v0, v187
	v_fmac_f32_e32 v11, 0x3e9e377a, v9
	v_mul_f32_e32 v21, 0xbf167918, v4
	v_fmac_f32_e32 v1, 0x3e9e377a, v10
	v_fmac_f32_e32 v13, 0x3e9e377a, v10
	v_add_f32_e32 v22, v0, v189
	v_add_f32_e32 v0, v182, v187
	v_add_nc_u32_e32 v9, 0x800, v42
	v_mul_f32_e32 v20, 0x3f167918, v1
	v_fmac_f32_e32 v21, 0x3f4f1bbd, v1
	v_add_f32_e32 v1, v181, v191
	v_fma_f32 v23, -0.5, v0, v169
	v_add_f32_e32 v0, v170, v177
	v_fmac_f32_e32 v20, 0x3f4f1bbd, v4
	v_add_f32_e32 v4, v184, v190
	v_add_f32_e32 v1, v1, v16
	v_fmamk_f32 v25, v24, 0x3f737871, v23
	v_add_f32_e32 v0, v0, v180
	v_add_f32_e32 v5, v31, v21
	v_add_f32_e32 v4, v4, v255
	v_add_f32_e32 v1, v1, v12
	v_fmac_f32_e32 v25, 0x3f167918, v26
	v_add_f32_e32 v0, v0, v186
	v_fmac_f32_e32 v23, 0xbf737871, v24
	v_add_f32_e32 v4, v4, v2
	v_add_f32_e32 v37, v1, v8
	v_fmac_f32_e32 v25, 0x3e9e377a, v6
	v_add_f32_e32 v35, v0, v188
	v_sub_f32_e32 v2, v2, v3
	v_add_f32_e32 v38, v4, v3
	v_add_f32_e32 v0, v22, v37
	;; [unrolled: 1-line block ×3, first 2 shown]
	v_fmac_f32_e32 v23, 0xbf167918, v26
	v_mul_f32_e32 v7, 0xbf4f1bbd, v13
	v_add_f32_e32 v1, v35, v38
	buffer_store_dword v9, off, s[20:23], 0 offset:344 ; 4-byte Folded Spill
	v_sub_f32_e32 v10, v45, v174
	v_fmac_f32_e32 v23, 0x3e9e377a, v6
	v_mul_f32_e32 v6, 0xbf4f1bbd, v11
	ds_write2_b64 v42, v[0:1], v[4:5] offset1:75
	v_add_f32_e32 v4, v178, v189
	v_add_f32_e32 v5, v177, v188
	v_sub_f32_e32 v0, v182, v178
	v_sub_f32_e32 v1, v187, v189
	v_fmac_f32_e32 v6, 0x3f167918, v13
	v_fma_f32 v4, -0.5, v4, v169
	v_fmac_f32_e32 v170, -0.5, v5
	v_add_f32_e32 v5, v191, v8
	v_add_f32_e32 v0, v0, v1
	v_sub_f32_e32 v1, v180, v177
	v_fmamk_f32 v41, v26, 0xbf737871, v4
	v_fmac_f32_e32 v4, 0x3f737871, v26
	v_sub_f32_e32 v8, v12, v8
	v_fmamk_f32 v12, v34, 0x3f737871, v170
	v_fmac_f32_e32 v170, 0xbf737871, v34
	v_fmac_f32_e32 v41, 0x3f167918, v24
	;; [unrolled: 1-line block ×3, first 2 shown]
	v_fmac_f32_e32 v181, -0.5, v5
	v_fmac_f32_e32 v12, 0xbf167918, v30
	v_fmac_f32_e32 v170, 0x3f167918, v30
	;; [unrolled: 1-line block ×4, first 2 shown]
	v_add_f32_e32 v0, v1, v40
	v_sub_f32_e32 v1, v16, v191
	v_fmac_f32_e32 v7, 0xbf167918, v11
	v_sub_f32_e32 v11, v161, v165
	v_sub_f32_e32 v13, v59, v164
	v_fmac_f32_e32 v12, 0x3e9e377a, v0
	v_fmac_f32_e32 v170, 0x3e9e377a, v0
	v_add_f32_e32 v0, v1, v8
	v_add_f32_e32 v1, v190, v3
	v_fmamk_f32 v3, v19, 0xbf737871, v181
	v_fmac_f32_e32 v181, 0x3f737871, v19
	v_sub_f32_e32 v19, v46, v175
	buffer_store_dword v42, off, s[20:23], 0 offset:440 ; 4-byte Folded Spill
	v_fmac_f32_e32 v184, -0.5, v1
	v_sub_f32_e32 v1, v255, v190
	v_fmac_f32_e32 v3, 0x3f167918, v17
	v_fmac_f32_e32 v181, 0xbf167918, v17
	;; [unrolled: 1-line block ×4, first 2 shown]
	v_add_f32_e32 v0, v1, v2
	v_fmamk_f32 v1, v15, 0x3f737871, v184
	v_fmac_f32_e32 v184, 0xbf737871, v15
	v_mul_f32_e32 v8, 0xbf737871, v3
	v_mul_f32_e32 v16, 0xbe9e377a, v181
	v_fmac_f32_e32 v1, 0xbf167918, v14
	v_fmac_f32_e32 v184, 0x3f167918, v14
	v_fmac_f32_e32 v1, 0x3e9e377a, v0
	v_fmac_f32_e32 v184, 0x3e9e377a, v0
	v_mul_f32_e32 v5, 0x3f737871, v1
	v_mul_f32_e32 v40, 0xbe9e377a, v184
	v_fmac_f32_e32 v8, 0x3e9e377a, v1
	v_fmac_f32_e32 v16, 0x3f737871, v184
	;; [unrolled: 1-line block ×4, first 2 shown]
	v_add_f32_e32 v1, v12, v8
	v_add_f32_e32 v2, v4, v16
	;; [unrolled: 1-line block ×4, first 2 shown]
	ds_write2_b64 v42, v[0:1], v[2:3] offset0:150 offset1:225
	v_sub_f32_e32 v0, v22, v37
	v_sub_f32_e32 v1, v35, v38
	v_add_f32_e32 v2, v23, v6
	v_add_f32_e32 v3, v27, v7
	ds_write2_b64 v9, v[2:3], v[0:1] offset0:44 offset1:119
	v_sub_f32_e32 v0, v25, v20
	v_sub_f32_e32 v1, v31, v21
	;; [unrolled: 1-line block ×4, first 2 shown]
	v_add_nc_u32_e32 v5, 0xc00, v42
	v_sub_f32_e32 v12, v44, v173
	v_sub_f32_e32 v21, v162, v166
	;; [unrolled: 1-line block ×3, first 2 shown]
	ds_write2_b64 v5, v[0:1], v[2:3] offset0:66 offset1:141
	v_sub_f32_e32 v1, v170, v40
	v_sub_f32_e32 v0, v4, v16
	;; [unrolled: 1-line block ×4, first 2 shown]
	v_add_nc_u32_e32 v4, 0x1000, v42
	buffer_store_dword v5, off, s[20:23], 0 offset:348 ; 4-byte Folded Spill
	v_sub_f32_e32 v23, v47, v176
	ds_write2_b64 v4, v[0:1], v[2:3] offset0:88 offset1:163
	v_sub_f32_e32 v0, v47, v163
	v_sub_f32_e32 v1, v176, v18
	buffer_store_dword v4, off, s[20:23], 0 offset:352 ; 4-byte Folded Spill
	v_add_f32_e32 v3, v162, v166
	v_add_f32_e32 v4, v0, v1
	v_sub_f32_e32 v0, v46, v162
	v_sub_f32_e32 v1, v175, v166
	v_fma_f32 v22, -0.5, v3, v29
	v_add_f32_e32 v5, v0, v1
	v_sub_f32_e32 v0, v45, v161
	v_sub_f32_e32 v1, v174, v165
	v_fmamk_f32 v24, v23, 0xbf737871, v22
	v_fmac_f32_e32 v22, 0x3f737871, v23
	v_add_f32_e32 v6, v0, v1
	v_sub_f32_e32 v0, v44, v59
	v_sub_f32_e32 v1, v173, v164
	v_fmac_f32_e32 v24, 0xbf167918, v25
	v_fmac_f32_e32 v22, 0x3f167918, v25
	v_add_f32_e32 v7, v0, v1
	v_add_f32_e32 v1, v161, v165
	v_mad_u16 v0, 0x2ee, v224, v183
	v_fmac_f32_e32 v24, 0x3e9e377a, v5
	v_fmac_f32_e32 v22, 0x3e9e377a, v5
	v_fma_f32 v8, -0.5, v1, v32
	v_add_f32_e32 v1, v59, v164
	v_lshlrev_b32_sdwa v255, v211, v0 dst_sel:DWORD dst_unused:UNUSED_PAD src0_sel:DWORD src1_sel:WORD_0
	v_add_f32_e32 v0, v28, v47
	v_fmamk_f32 v2, v12, 0x3f737871, v8
	v_fma_f32 v9, -0.5, v1, v33
	v_fmac_f32_e32 v8, 0xbf737871, v12
	v_add_f32_e32 v0, v0, v163
	v_fmac_f32_e32 v2, 0x3f167918, v13
	v_fmamk_f32 v1, v10, 0xbf737871, v9
	v_fmac_f32_e32 v9, 0x3f737871, v10
	v_add_f32_e32 v0, v0, v18
	v_fmac_f32_e32 v8, 0xbf167918, v13
	v_fmac_f32_e32 v2, 0x3e9e377a, v6
	;; [unrolled: 1-line block ×4, first 2 shown]
	v_add_f32_e32 v16, v0, v176
	v_add_f32_e32 v0, v163, v18
	v_mul_f32_e32 v15, 0xbf167918, v2
	v_fmac_f32_e32 v1, 0x3e9e377a, v7
	v_fmac_f32_e32 v8, 0x3e9e377a, v6
	;; [unrolled: 1-line block ×3, first 2 shown]
	v_fma_f32 v17, -0.5, v0, v28
	v_add_f32_e32 v0, v29, v46
	v_mul_f32_e32 v14, 0x3f167918, v1
	v_fmac_f32_e32 v15, 0x3f4f1bbd, v1
	v_add_f32_e32 v1, v32, v45
	v_fmamk_f32 v20, v19, 0x3f737871, v17
	v_add_f32_e32 v0, v0, v162
	v_fmac_f32_e32 v14, 0x3f4f1bbd, v2
	v_add_f32_e32 v2, v33, v44
	v_add_f32_e32 v1, v1, v161
	v_fmac_f32_e32 v20, 0x3f167918, v21
	v_add_f32_e32 v0, v0, v166
	v_add_f32_e32 v3, v24, v15
	;; [unrolled: 1-line block ×4, first 2 shown]
	v_fmac_f32_e32 v20, 0x3e9e377a, v4
	v_add_f32_e32 v26, v0, v175
	v_fmac_f32_e32 v17, 0xbf737871, v19
	v_add_f32_e32 v2, v2, v164
	v_add_f32_e32 v27, v1, v174
	v_mul_f32_e32 v5, 0xbf4f1bbd, v9
	v_add_nc_u32_e32 v6, 0x800, v255
	v_fmac_f32_e32 v17, 0xbf167918, v21
	v_add_f32_e32 v30, v2, v173
	v_add_f32_e32 v0, v16, v27
	;; [unrolled: 1-line block ×3, first 2 shown]
	v_fmac_f32_e32 v5, 0xbf167918, v8
	v_fmac_f32_e32 v17, 0x3e9e377a, v4
	v_add_f32_e32 v1, v26, v30
	v_mul_f32_e32 v4, 0xbf4f1bbd, v8
	buffer_store_dword v6, off, s[20:23], 0 offset:356 ; 4-byte Folded Spill
	ds_write2_b64 v255, v[0:1], v[2:3] offset1:75
	v_add_f32_e32 v2, v47, v176
	v_sub_f32_e32 v0, v163, v47
	v_sub_f32_e32 v1, v18, v176
	v_add_f32_e32 v3, v46, v175
	v_sub_f32_e32 v18, v166, v175
	v_fma_f32 v28, -0.5, v2, v28
	v_add_f32_e32 v2, v45, v174
	v_add_f32_e32 v0, v0, v1
	v_sub_f32_e32 v1, v162, v46
	v_fmac_f32_e32 v29, -0.5, v3
	v_fmamk_f32 v31, v21, 0xbf737871, v28
	v_fmac_f32_e32 v28, 0x3f737871, v21
	v_sub_f32_e32 v3, v165, v174
	v_fmac_f32_e32 v32, -0.5, v2
	v_sub_f32_e32 v2, v164, v173
	v_fmac_f32_e32 v31, 0x3f167918, v19
	v_fmac_f32_e32 v28, 0xbf167918, v19
	;; [unrolled: 1-line block ×5, first 2 shown]
	v_add_f32_e32 v0, v1, v18
	v_fmamk_f32 v18, v25, 0x3f737871, v29
	v_fmac_f32_e32 v29, 0xbf737871, v25
	v_sub_f32_e32 v1, v161, v45
	v_fmac_f32_e32 v18, 0xbf167918, v23
	v_fmac_f32_e32 v29, 0x3f167918, v23
	;; [unrolled: 1-line block ×4, first 2 shown]
	v_add_f32_e32 v0, v1, v3
	v_add_f32_e32 v1, v44, v173
	v_fmamk_f32 v3, v13, 0xbf737871, v32
	v_fmac_f32_e32 v32, 0x3f737871, v13
	v_fmac_f32_e32 v33, -0.5, v1
	v_sub_f32_e32 v1, v59, v44
	v_fmac_f32_e32 v3, 0x3f167918, v12
	v_fmac_f32_e32 v32, 0xbf167918, v12
	;; [unrolled: 1-line block ×4, first 2 shown]
	v_add_f32_e32 v0, v1, v2
	v_fmamk_f32 v1, v11, 0x3f737871, v33
	v_fmac_f32_e32 v33, 0xbf737871, v11
	v_mul_f32_e32 v35, 0xbf737871, v3
	v_mul_f32_e32 v37, 0xbe9e377a, v32
	v_fmac_f32_e32 v1, 0xbf167918, v10
	v_fmac_f32_e32 v33, 0x3f167918, v10
	;; [unrolled: 1-line block ×4, first 2 shown]
	v_mul_f32_e32 v34, 0x3f737871, v1
	v_fmac_f32_e32 v37, 0x3f737871, v33
	v_mul_f32_e32 v33, 0xbe9e377a, v33
	v_fmac_f32_e32 v35, 0x3e9e377a, v1
	v_fmac_f32_e32 v34, 0x3e9e377a, v3
	v_add_f32_e32 v2, v28, v37
	v_fmac_f32_e32 v33, 0xbf737871, v32
	v_add_f32_e32 v1, v18, v35
	v_add_f32_e32 v0, v31, v34
	;; [unrolled: 1-line block ×3, first 2 shown]
	ds_write2_b64 v255, v[0:1], v[2:3] offset0:150 offset1:225
	v_sub_f32_e32 v0, v16, v27
	v_sub_f32_e32 v1, v26, v30
	v_add_f32_e32 v2, v17, v4
	v_add_f32_e32 v3, v22, v5
	ds_write2_b64 v6, v[2:3], v[0:1] offset0:44 offset1:119
	v_sub_f32_e32 v0, v20, v14
	v_sub_f32_e32 v1, v24, v15
	v_sub_f32_e32 v2, v31, v34
	v_sub_f32_e32 v3, v18, v35
	v_add_nc_u32_e32 v6, 0xc00, v255
	ds_write2_b64 v6, v[0:1], v[2:3] offset0:66 offset1:141
	v_sub_f32_e32 v1, v29, v33
	v_sub_f32_e32 v0, v28, v37
	v_sub_f32_e32 v2, v17, v4
	v_sub_f32_e32 v3, v22, v5
	v_add_nc_u32_e32 v4, 0x1000, v255
	buffer_store_dword v6, off, s[20:23], 0 offset:360 ; 4-byte Folded Spill
	ds_write2_b64 v4, v[0:1], v[2:3] offset0:88 offset1:163
	v_lshlrev_b32_e32 v0, 5, v60
	buffer_store_dword v4, off, s[20:23], 0 offset:364 ; 4-byte Folded Spill
	v_lshlrev_b32_e32 v4, 5, v39
	s_waitcnt lgkmcnt(0)
	s_waitcnt_vscnt null, 0x0
	s_barrier
	v_add_co_u32 v2, s6, s10, v0
	v_add_co_ci_u32_e64 v3, null, s11, 0, s6
	v_add_co_u32 v6, s6, s10, v4
	v_add_co_u32 v0, vcc_lo, 0x1000, v2
	v_add_co_ci_u32_e32 v1, vcc_lo, 0, v3, vcc_lo
	v_add_co_u32 v2, vcc_lo, 0x1758, v2
	v_add_co_ci_u32_e64 v7, null, s11, 0, s6
	v_add_co_ci_u32_e32 v3, vcc_lo, 0, v3, vcc_lo
	v_add_co_u32 v4, vcc_lo, 0x1000, v6
	v_add_co_ci_u32_e32 v5, vcc_lo, 0, v7, vcc_lo
	buffer_gl0_inv
	s_clause 0x1
	global_load_dwordx4 v[245:248], v[0:1], off offset:1880
	global_load_dwordx4 v[24:27], v[2:3], off offset:16
	ds_read2_b64 v[0:3], v126 offset0:110 offset1:235
	global_load_dwordx4 v[14:17], v[4:5], off offset:1880
	s_waitcnt vmcnt(0)
	buffer_store_dword v14, off, s[20:23], 0 offset:404 ; 4-byte Folded Spill
	buffer_store_dword v15, off, s[20:23], 0 offset:408 ; 4-byte Folded Spill
	;; [unrolled: 1-line block ×4, first 2 shown]
	v_add_co_u32 v6, vcc_lo, 0x1758, v6
	v_add_co_ci_u32_e32 v7, vcc_lo, 0, v7, vcc_lo
	s_waitcnt lgkmcnt(0)
	v_mul_f32_e32 v8, v1, v246
	global_load_dwordx4 v[4:7], v[6:7], off offset:16
	v_fma_f32 v9, v0, v245, -v8
	v_mul_f32_e32 v8, v0, v246
	v_fmac_f32_e32 v8, v1, v245
	v_mul_f32_e32 v0, v3, v15
	v_mul_f32_e32 v35, v2, v15
	v_fma_f32 v64, v2, v14, -v0
	v_fmac_f32_e32 v35, v3, v14
	ds_read2_b64 v[12:15], v74 offset0:92 offset1:217
	s_waitcnt lgkmcnt(0)
	v_mul_f32_e32 v0, v13, v248
	v_mul_f32_e32 v224, v14, v17
	;; [unrolled: 1-line block ×3, first 2 shown]
	v_fma_f32 v11, v12, v247, -v0
	v_mul_f32_e32 v0, v15, v17
	v_fmac_f32_e32 v224, v15, v16
	v_fmac_f32_e32 v10, v13, v247
	v_sub_f32_e32 v3, v11, v9
	v_fma_f32 v211, v14, v16, -v0
	ds_read2_b64 v[14:17], v127 offset0:74 offset1:199
	buffer_store_dword v24, off, s[20:23], 0 offset:388 ; 4-byte Folded Spill
	buffer_store_dword v25, off, s[20:23], 0 offset:392 ; 4-byte Folded Spill
	;; [unrolled: 1-line block ×4, first 2 shown]
	s_waitcnt vmcnt(0)
	buffer_store_dword v4, off, s[20:23], 0 offset:372 ; 4-byte Folded Spill
	buffer_store_dword v5, off, s[20:23], 0 offset:376 ; 4-byte Folded Spill
	;; [unrolled: 1-line block ×4, first 2 shown]
	ds_read2_b64 v[166:169], v192 offset1:125
	s_waitcnt lgkmcnt(1)
	v_mul_f32_e32 v0, v15, v25
	v_mul_f32_e32 v12, v14, v25
	v_fma_f32 v13, v14, v24, -v0
	v_mul_f32_e32 v0, v17, v5
	v_mul_f32_e32 v5, v16, v5
	v_fmac_f32_e32 v12, v15, v24
	v_sub_f32_e32 v40, v11, v13
	v_fma_f32 v61, v16, v4, -v0
	v_fmac_f32_e32 v5, v17, v4
	ds_read2_b64 v[16:19], v73 offset0:56 offset1:181
	v_sub_f32_e32 v38, v10, v12
	v_sub_f32_e32 v53, v211, v61
	;; [unrolled: 1-line block ×3, first 2 shown]
	s_waitcnt lgkmcnt(0)
	v_mul_f32_e32 v1, v17, v27
	v_mul_f32_e32 v14, v16, v27
	;; [unrolled: 1-line block ×3, first 2 shown]
	v_fma_f32 v15, v16, v26, -v1
	v_mul_f32_e32 v1, v19, v7
	v_fmac_f32_e32 v14, v17, v26
	v_fmac_f32_e32 v0, v19, v6
	v_sub_f32_e32 v2, v15, v13
	v_fma_f32 v60, v18, v6, -v1
	v_sub_f32_e32 v1, v9, v11
	v_sub_f32_e32 v34, v8, v14
	;; [unrolled: 1-line block ×3, first 2 shown]
	v_add_f32_e32 v4, v9, v15
	v_sub_f32_e32 v52, v35, v0
	v_add_f32_e32 v37, v1, v2
	v_add_f32_e32 v1, v11, v13
	;; [unrolled: 1-line block ×3, first 2 shown]
	v_fma_f32 v165, -0.5, v4, v166
	v_sub_f32_e32 v54, v64, v60
	v_add_nc_u32_e32 v6, 0x4800, v192
	v_fma_f32 v161, -0.5, v1, v166
	v_fma_f32 v162, -0.5, v2, v167
	v_sub_f32_e32 v1, v8, v10
	v_sub_f32_e32 v2, v14, v12
	v_fmamk_f32 v170, v38, 0xbf737871, v165
	v_fmac_f32_e32 v165, 0x3f737871, v38
	v_mov_b32_e32 v72, v6
	v_add_f32_e32 v33, v1, v2
	v_fmamk_f32 v1, v34, 0x3f737871, v161
	v_fmamk_f32 v2, v39, 0xbf737871, v162
	v_fmac_f32_e32 v162, 0x3f737871, v39
	v_fmac_f32_e32 v161, 0xbf737871, v34
	;; [unrolled: 1-line block ×11, first 2 shown]
	v_add_f32_e32 v33, v168, v64
	v_add_f32_e32 v34, v169, v35
	v_fmac_f32_e32 v161, 0x3e9e377a, v37
	ds_write_b64 v192, v[1:2] offset:6000
	v_add_f32_e32 v2, v167, v8
	v_add_f32_e32 v1, v166, v9
	;; [unrolled: 1-line block ×3, first 2 shown]
	v_sub_f32_e32 v9, v13, v15
	v_add_f32_e32 v34, v34, v224
	v_add_f32_e32 v2, v2, v10
	;; [unrolled: 1-line block ×8, first 2 shown]
	v_fmac_f32_e32 v170, 0x3e9e377a, v41
	v_fmac_f32_e32 v165, 0x3e9e377a, v41
	v_add_f32_e32 v164, v2, v14
	v_add_f32_e32 v2, v8, v14
	v_add_f32_e32 v163, v1, v15
	v_sub_f32_e32 v1, v10, v8
	v_sub_f32_e32 v8, v12, v14
	v_fma_f32 v166, -0.5, v2, v167
	v_add_f32_e32 v42, v1, v8
	ds_read2_b64 v[8:11], v217 offset0:122 offset1:247
	ds_read2_b64 v[12:15], v77 offset0:104 offset1:229
	;; [unrolled: 1-line block ×10, first 2 shown]
	v_fmamk_f32 v171, v40, 0x3f737871, v166
	v_fmac_f32_e32 v166, 0xbf737871, v40
	ds_write_b64 v192, v[161:162] offset:24000
	v_add_f32_e32 v161, v33, v60
	v_lshlrev_b32_e32 v33, 5, v160
	v_fmac_f32_e32 v171, 0xbf167918, v39
	v_fmac_f32_e32 v166, 0x3f167918, v39
	v_add_f32_e32 v162, v34, v0
	v_add_co_u32 v33, s6, s10, v33
	v_fmac_f32_e32 v171, 0x3e9e377a, v42
	v_fmac_f32_e32 v166, 0x3e9e377a, v42
	v_add_co_ci_u32_e64 v34, null, s11, 0, s6
	v_add_co_u32 v160, vcc_lo, 0x1758, v33
	ds_write_b64 v192, v[170:171] offset:12000
	ds_write_b64 v192, v[165:166] offset:18000
	ds_write2_b64 v192, v[163:164], v[161:162] offset1:125
	v_add_co_ci_u32_e32 v161, vcc_lo, 0, v34, vcc_lo
	v_add_co_u32 v162, vcc_lo, 0x1000, v33
	v_add_co_ci_u32_e32 v163, vcc_lo, 0, v34, vcc_lo
	s_clause 0x1
	global_load_dwordx4 v[164:167], v[162:163], off offset:1880
	global_load_dwordx4 v[160:163], v[160:161], off offset:16
	v_add_f32_e32 v33, v211, v61
	v_add_f32_e32 v34, v64, v60
	v_fma_f32 v217, -0.5, v33, v168
	v_fma_f32 v168, -0.5, v34, v168
	v_sub_f32_e32 v33, v211, v64
	v_sub_f32_e32 v34, v61, v60
	v_add_f32_e32 v39, v33, v34
	v_add_f32_e32 v33, v224, v5
	v_sub_f32_e32 v34, v5, v0
	v_fma_f32 v218, -0.5, v33, v169
	v_add_f32_e32 v33, v35, v0
	v_sub_f32_e32 v0, v0, v5
	v_fmac_f32_e32 v169, -0.5, v33
	v_sub_f32_e32 v33, v224, v35
	v_add_f32_e32 v40, v33, v34
	s_waitcnt vmcnt(1) lgkmcnt(12)
	v_mul_f32_e32 v33, v13, v165
	v_mul_f32_e32 v46, v12, v165
	s_waitcnt vmcnt(0) lgkmcnt(9)
	v_mul_f32_e32 v47, v186, v163
	v_mul_f32_e32 v48, v174, v167
	;; [unrolled: 1-line block ×3, first 2 shown]
	v_fma_f32 v41, v12, v164, -v33
	v_mul_f32_e32 v33, v175, v167
	v_fmac_f32_e32 v46, v13, v164
	v_fmac_f32_e32 v47, v187, v162
	v_fmac_f32_e32 v48, v175, v166
	v_fmac_f32_e32 v49, v179, v160
	v_fma_f32 v42, v174, v166, -v33
	v_mul_f32_e32 v33, v179, v161
	v_add_f32_e32 v13, v46, v47
	v_sub_f32_e32 v56, v46, v47
	v_sub_f32_e32 v55, v48, v49
	v_fma_f32 v43, v178, v160, -v33
	v_mul_f32_e32 v33, v187, v163
	v_fma_f32 v13, -0.5, v13, v9
	v_sub_f32_e32 v57, v42, v43
	v_fma_f32 v44, v186, v162, -v33
	v_sub_f32_e32 v33, v42, v41
	v_fmamk_f32 v38, v57, 0x3f737871, v13
	v_sub_f32_e32 v34, v43, v44
	v_add_f32_e32 v12, v41, v44
	v_fmac_f32_e32 v13, 0xbf737871, v57
	v_sub_f32_e32 v59, v41, v44
	v_add_f32_e32 v45, v33, v34
	v_fma_f32 v12, -0.5, v12, v8
	v_sub_f32_e32 v33, v48, v46
	v_sub_f32_e32 v34, v49, v47
	v_fmac_f32_e32 v13, 0x3f167918, v59
	v_fmac_f32_e32 v38, 0xbf167918, v59
	v_fmamk_f32 v37, v55, 0xbf737871, v12
	v_fmac_f32_e32 v12, 0x3f737871, v55
	v_add_f32_e32 v50, v33, v34
	v_fmamk_f32 v33, v51, 0xbf737871, v168
	v_fmac_f32_e32 v168, 0x3f737871, v51
	v_fmamk_f32 v34, v53, 0x3f737871, v169
	v_fmac_f32_e32 v169, 0xbf737871, v53
	v_fmac_f32_e32 v12, 0xbf167918, v56
	;; [unrolled: 1-line block ×15, first 2 shown]
	ds_write2_b64 v6, v[168:169], v[12:13] offset0:71 offset1:196
	v_lshlrev_b32_e32 v12, 5, v172
	v_add_co_u32 v168, s6, s10, v12
	v_add_co_ci_u32_e64 v169, null, s11, 0, s6
	v_add_co_u32 v12, vcc_lo, 0x1000, v168
	v_add_co_ci_u32_e32 v13, vcc_lo, 0, v169, vcc_lo
	v_add_co_u32 v168, vcc_lo, 0x1758, v168
	v_add_co_ci_u32_e32 v169, vcc_lo, 0, v169, vcc_lo
	s_clause 0x1
	global_load_dwordx4 v[184:187], v[12:13], off offset:1880
	global_load_dwordx4 v[172:175], v[168:169], off offset:16
	s_waitcnt vmcnt(1)
	v_mul_f32_e32 v12, v15, v185
	v_mul_f32_e32 v63, v14, v185
	;; [unrolled: 1-line block ×3, first 2 shown]
	s_waitcnt vmcnt(0)
	v_mul_f32_e32 v65, v188, v175
	v_mul_f32_e32 v62, v180, v173
	v_fma_f32 v32, v14, v184, -v12
	v_mul_f32_e32 v12, v177, v187
	v_fmac_f32_e32 v63, v15, v184
	v_fmac_f32_e32 v194, v177, v186
	;; [unrolled: 1-line block ×4, first 2 shown]
	v_fma_f32 v193, v176, v186, -v12
	v_mul_f32_e32 v12, v181, v173
	v_fma_f32 v7, v180, v172, -v12
	v_mul_f32_e32 v12, v189, v175
	v_fma_f32 v6, v188, v174, -v12
	v_lshlrev_b32_e32 v12, 5, v212
	v_add_co_u32 v14, s6, s10, v12
	v_add_co_ci_u32_e64 v15, null, s11, 0, s6
	v_add_co_u32 v66, s6, s10, v66
	v_add_co_u32 v12, vcc_lo, 0x1000, v14
	v_add_co_ci_u32_e32 v13, vcc_lo, 0, v15, vcc_lo
	v_add_co_u32 v14, vcc_lo, 0x1758, v14
	v_add_co_ci_u32_e64 v67, null, s11, 0, s6
	v_add_co_ci_u32_e32 v15, vcc_lo, 0, v15, vcc_lo
	v_add_co_u32 v168, vcc_lo, 0x1000, v66
	v_add_co_ci_u32_e32 v169, vcc_lo, 0, v67, vcc_lo
	v_add_co_u32 v170, vcc_lo, 0x1758, v66
	s_clause 0x1
	global_load_dwordx4 v[188:191], v[12:13], off offset:1880
	global_load_dwordx4 v[176:179], v[14:15], off offset:16
	v_add_co_ci_u32_e32 v171, vcc_lo, 0, v67, vcc_lo
	s_clause 0x1
	global_load_dwordx4 v[180:183], v[168:169], off offset:1880
	global_load_dwordx4 v[168:171], v[170:171], off offset:16
	v_add_nc_u32_e32 v67, 0x3000, v192
	s_mul_hi_u32 s6, s0, 0xffffb5c8
	s_sub_i32 s6, s6, s0
	ds_write2_b64 v67, v[33:34], v[37:38] offset0:89 offset1:214
	v_sub_f32_e32 v33, v32, v6
	s_waitcnt vmcnt(3) lgkmcnt(9)
	v_mul_f32_e32 v12, v2, v189
	v_mul_f32_e32 v13, v1, v189
	v_fma_f32 v12, v1, v188, -v12
	s_waitcnt vmcnt(1)
	v_mul_f32_e32 v1, v4, v181
	v_fmac_f32_e32 v13, v2, v188
	v_mul_f32_e32 v15, v3, v181
	v_sub_f32_e32 v2, v60, v61
	v_fma_f32 v14, v3, v180, -v1
	s_waitcnt lgkmcnt(8)
	v_mul_f32_e32 v1, v21, v191
	v_sub_f32_e32 v3, v35, v224
	v_fmac_f32_e32 v15, v4, v180
	v_fma_f32 v66, v20, v190, -v1
	v_mul_f32_e32 v20, v20, v191
	v_mul_f32_e32 v1, v23, v183
	v_add_f32_e32 v35, v3, v0
	v_sub_f32_e32 v0, v41, v42
	v_sub_f32_e32 v3, v47, v49
	v_fmac_f32_e32 v20, v21, v190
	v_fma_f32 v21, v22, v182, -v1
	v_mul_f32_e32 v22, v22, v183
	s_waitcnt lgkmcnt(7)
	v_mul_f32_e32 v1, v25, v177
	v_fmac_f32_e32 v22, v23, v182
	v_fma_f32 v23, v24, v176, -v1
	v_mul_f32_e32 v24, v24, v177
	s_waitcnt vmcnt(0)
	v_mul_f32_e32 v1, v27, v169
	v_sub_f32_e32 v37, v66, v23
	v_fmac_f32_e32 v24, v25, v176
	v_fma_f32 v25, v26, v168, -v1
	v_mul_f32_e32 v26, v26, v169
	s_waitcnt lgkmcnt(6)
	v_mul_f32_e32 v1, v29, v179
	v_sub_f32_e32 v34, v20, v24
	v_fmac_f32_e32 v26, v27, v168
	v_fma_f32 v27, v28, v178, -v1
	v_mul_f32_e32 v28, v28, v179
	v_mul_f32_e32 v1, v31, v171
	v_fmac_f32_e32 v28, v29, v178
	v_fma_f32 v29, v30, v170, -v1
	v_mul_f32_e32 v30, v30, v171
	v_sub_f32_e32 v1, v64, v211
	v_add_nc_u32_e32 v64, 0x1800, v192
	v_sub_f32_e32 v45, v14, v29
	v_fmac_f32_e32 v30, v31, v170
	v_add_f32_e32 v31, v1, v2
	v_sub_f32_e32 v1, v44, v43
	v_sub_f32_e32 v2, v46, v48
	v_mov_b32_e32 v76, v64
	v_add_f32_e32 v60, v0, v1
	v_add_f32_e32 v0, v42, v43
	;; [unrolled: 1-line block ×4, first 2 shown]
	v_fmamk_f32 v2, v52, 0x3f737871, v217
	v_fmamk_f32 v3, v54, 0xbf737871, v218
	v_fma_f32 v0, -0.5, v0, v8
	v_fma_f32 v1, -0.5, v1, v9
	v_fmac_f32_e32 v217, 0xbf737871, v52
	v_fmac_f32_e32 v2, 0x3f167918, v51
	;; [unrolled: 1-line block ×3, first 2 shown]
	v_fmamk_f32 v4, v56, 0x3f737871, v0
	v_fmamk_f32 v5, v59, 0xbf737871, v1
	v_fmac_f32_e32 v218, 0x3f737871, v54
	v_fmac_f32_e32 v0, 0xbf737871, v56
	;; [unrolled: 1-line block ×14, first 2 shown]
	ds_write2_b64 v64, v[2:3], v[4:5] offset0:107 offset1:232
	v_fmac_f32_e32 v218, 0x3e9e377a, v35
	v_fmac_f32_e32 v0, 0x3e9e377a, v60
	;; [unrolled: 1-line block ×3, first 2 shown]
	v_add_nc_u32_e32 v64, 0x6000, v192
	v_add_f32_e32 v2, v10, v32
	v_add_f32_e32 v3, v11, v63
	v_sub_f32_e32 v31, v193, v7
	v_sub_f32_e32 v35, v12, v27
	ds_write2_b64 v64, v[217:218], v[0:1] offset0:53 offset1:178
	v_add_f32_e32 v0, v8, v41
	v_add_f32_e32 v1, v9, v46
	v_add_f32_e32 v2, v2, v193
	v_add_f32_e32 v3, v3, v194
	v_sub_f32_e32 v8, v194, v62
	v_add_f32_e32 v0, v0, v42
	v_add_f32_e32 v1, v1, v48
	v_add_f32_e32 v2, v2, v7
	v_add_f32_e32 v3, v3, v62
	v_sub_f32_e32 v9, v63, v65
	v_add_f32_e32 v0, v0, v43
	v_add_f32_e32 v1, v1, v49
	v_add_f32_e32 v2, v2, v6
	v_add_f32_e32 v3, v3, v65
	v_sub_f32_e32 v42, v22, v26
	v_add_f32_e32 v0, v0, v44
	v_add_f32_e32 v1, v1, v47
	v_sub_f32_e32 v44, v21, v25
	v_sub_f32_e32 v43, v15, v30
	v_mov_b32_e32 v56, v74
	v_mov_b32_e32 v60, v73
	ds_write2_b64 v69, v[0:1], v[2:3] offset0:122 offset1:247
	v_add_f32_e32 v0, v193, v7
	v_add_f32_e32 v1, v32, v6
	v_sub_f32_e32 v2, v7, v6
	v_sub_f32_e32 v3, v62, v65
	v_mov_b32_e32 v83, v60
	v_fma_f32 v0, -0.5, v0, v10
	v_fma_f32 v10, -0.5, v1, v10
	v_sub_f32_e32 v1, v193, v32
	v_add_f32_e32 v4, v1, v2
	v_add_f32_e32 v1, v194, v62
	;; [unrolled: 1-line block ×3, first 2 shown]
	v_fma_f32 v1, -0.5, v1, v11
	v_fmac_f32_e32 v11, -0.5, v2
	v_sub_f32_e32 v2, v194, v63
	v_add_f32_e32 v5, v2, v3
	v_fmamk_f32 v2, v8, 0xbf737871, v10
	v_fmamk_f32 v3, v31, 0x3f737871, v11
	v_fmac_f32_e32 v10, 0x3f737871, v8
	v_fmac_f32_e32 v11, 0xbf737871, v31
	;; [unrolled: 1-line block ×10, first 2 shown]
	v_sub_f32_e32 v4, v32, v193
	v_sub_f32_e32 v5, v6, v7
	ds_write_b64 v192, v[2:3] offset:15000
	v_fmamk_f32 v2, v9, 0x3f737871, v0
	v_fmac_f32_e32 v0, 0xbf737871, v9
	v_sub_f32_e32 v6, v63, v194
	v_sub_f32_e32 v7, v65, v62
	v_fmamk_f32 v3, v33, 0xbf737871, v1
	v_fmac_f32_e32 v1, 0x3f737871, v33
	v_add_f32_e32 v4, v4, v5
	v_fmac_f32_e32 v0, 0xbf167918, v8
	v_add_f32_e32 v5, v6, v7
	v_fmac_f32_e32 v2, 0x3f167918, v8
	v_fmac_f32_e32 v1, 0x3f167918, v31
	;; [unrolled: 1-line block ×4, first 2 shown]
	v_sub_f32_e32 v33, v13, v28
	v_fmac_f32_e32 v2, 0x3e9e377a, v4
	v_fmac_f32_e32 v1, 0x3e9e377a, v5
	;; [unrolled: 1-line block ×3, first 2 shown]
	v_sub_f32_e32 v4, v13, v20
	v_sub_f32_e32 v5, v28, v24
	v_add_nc_u32_e32 v6, 0x2000, v192
	ds_write_b64 v192, v[0:1] offset:27000
	v_sub_f32_e32 v0, v12, v66
	v_sub_f32_e32 v1, v27, v23
	v_add_f32_e32 v32, v4, v5
	ds_write_b64 v192, v[10:11] offset:21000
	v_mov_b32_e32 v65, v6
	v_add_f32_e32 v10, v18, v14
	v_add_f32_e32 v31, v0, v1
	;; [unrolled: 1-line block ×5, first 2 shown]
	v_sub_f32_e32 v7, v26, v30
	v_add_f32_e32 v10, v10, v21
	v_fma_f32 v0, -0.5, v0, v16
	v_fma_f32 v1, -0.5, v1, v17
	v_add_f32_e32 v11, v11, v22
	v_add_f32_e32 v10, v10, v25
	v_fmamk_f32 v4, v33, 0x3f737871, v0
	v_fmamk_f32 v5, v35, 0xbf737871, v1
	v_add_f32_e32 v11, v11, v26
	v_fmac_f32_e32 v0, 0xbf737871, v33
	v_add_f32_e32 v10, v10, v29
	v_fmac_f32_e32 v4, 0x3f167918, v34
	v_fmac_f32_e32 v5, 0xbf167918, v37
	v_add_f32_e32 v11, v11, v30
	v_fmac_f32_e32 v1, 0x3f737871, v35
	v_fmac_f32_e32 v0, 0xbf167918, v34
	;; [unrolled: 1-line block ×6, first 2 shown]
	ds_write2_b64 v6, v[2:3], v[4:5] offset0:101 offset1:226
	v_sub_f32_e32 v4, v20, v13
	v_sub_f32_e32 v5, v24, v28
	;; [unrolled: 1-line block ×5, first 2 shown]
	v_fmac_f32_e32 v1, 0x3e9e377a, v32
	v_add_f32_e32 v39, v4, v5
	v_add_f32_e32 v4, v21, v25
	;; [unrolled: 1-line block ×6, first 2 shown]
	v_fma_f32 v4, -0.5, v4, v18
	v_fma_f32 v18, -0.5, v5, v18
	v_sub_f32_e32 v5, v21, v14
	v_fma_f32 v2, -0.5, v2, v16
	v_fma_f32 v3, -0.5, v3, v17
	v_fmamk_f32 v8, v42, 0xbf737871, v18
	v_add_f32_e32 v40, v5, v6
	v_add_f32_e32 v5, v22, v26
	v_add_f32_e32 v6, v15, v30
	v_fmac_f32_e32 v18, 0x3f737871, v42
	v_fmac_f32_e32 v8, 0x3f167918, v43
	v_fma_f32 v5, -0.5, v5, v19
	v_fmac_f32_e32 v19, -0.5, v6
	v_sub_f32_e32 v6, v22, v15
	v_fmac_f32_e32 v18, 0xbf167918, v43
	v_fmac_f32_e32 v8, 0x3e9e377a, v40
	v_fmamk_f32 v9, v44, 0x3f737871, v19
	v_add_f32_e32 v41, v6, v7
	v_fmamk_f32 v6, v34, 0xbf737871, v2
	v_fmac_f32_e32 v2, 0x3f737871, v34
	v_fmamk_f32 v7, v37, 0x3f737871, v3
	v_fmac_f32_e32 v3, 0xbf737871, v37
	v_fmac_f32_e32 v19, 0xbf737871, v44
	;; [unrolled: 1-line block ×15, first 2 shown]
	ds_write2_b64 v124, v[2:3], v[18:19] offset0:62 offset1:187
	v_add_f32_e32 v2, v16, v12
	v_add_f32_e32 v3, v17, v13
	ds_write2_b64 v75, v[6:7], v[8:9] offset0:80 offset1:205
	v_sub_f32_e32 v6, v14, v21
	v_sub_f32_e32 v7, v29, v25
	v_add_f32_e32 v2, v2, v66
	v_add_f32_e32 v3, v3, v20
	v_sub_f32_e32 v8, v15, v22
	v_sub_f32_e32 v9, v30, v26
	v_add_f32_e32 v6, v6, v7
	v_add_f32_e32 v2, v2, v23
	;; [unrolled: 1-line block ×3, first 2 shown]
	v_mov_b32_e32 v66, v68
	v_add_f32_e32 v7, v8, v9
	v_add_f32_e32 v2, v2, v27
	;; [unrolled: 1-line block ×3, first 2 shown]
	v_mov_b32_e32 v87, v66
	ds_write2_b64 v68, v[2:3], v[10:11] offset0:116 offset1:241
	v_fmamk_f32 v2, v43, 0x3f737871, v4
	v_fmac_f32_e32 v4, 0xbf737871, v43
	v_fmamk_f32 v3, v45, 0xbf737871, v5
	v_fmac_f32_e32 v5, 0x3f737871, v45
	v_fmac_f32_e32 v2, 0x3f167918, v42
	;; [unrolled: 1-line block ×9, first 2 shown]
	ds_write_b64 v192, v[2:3] offset:11000
	ds_write2_b64 v125, v[0:1], v[4:5] offset0:44 offset1:169
	v_add_co_u32 v0, vcc_lo, 0x7530, v36
	s_waitcnt lgkmcnt(0)
	s_waitcnt_vscnt null, 0x0
	s_barrier
	buffer_gl0_inv
	global_load_dwordx2 v[253:254], v[253:254], off offset:1328
	v_add_co_ci_u32_e32 v1, vcc_lo, 0, v58, vcc_lo
	v_add_co_u32 v4, vcc_lo, 0x9800, v36
	v_add_co_ci_u32_e32 v5, vcc_lo, 0, v58, vcc_lo
	s_clause 0x2
	global_load_dwordx2 v[6:7], v[0:1], off offset:1000
	global_load_dwordx2 v[8:9], v[0:1], off offset:2000
	;; [unrolled: 1-line block ×3, first 2 shown]
	ds_read2_b64 v[0:3], v192 offset1:125
	global_load_dwordx2 v[4:5], v[4:5], off offset:1088
	s_waitcnt vmcnt(4) lgkmcnt(0)
	v_mul_f32_e32 v10, v1, v254
	v_mul_f32_e32 v13, v0, v254
	v_fma_f32 v12, v0, v253, -v10
	s_waitcnt vmcnt(3)
	v_mul_f32_e32 v0, v3, v7
	v_fmac_f32_e32 v13, v1, v253
	v_mul_f32_e32 v54, v2, v7
	v_fma_f32 v53, v2, v6, -v0
	v_add_co_u32 v0, vcc_lo, 0xc000, v36
	v_add_co_ci_u32_e32 v1, vcc_lo, 0, v58, vcc_lo
	ds_write_b64 v192, v[12:13]
	v_fmac_f32_e32 v54, v3, v6
	s_clause 0x1
	global_load_dwordx2 v[6:7], v[0:1], off offset:848
	global_load_dwordx2 v[12:13], v[0:1], off offset:1848
	ds_read2_b64 v[0:3], v84 offset0:98 offset1:223
	s_waitcnt vmcnt(2) lgkmcnt(0)
	v_mul_f32_e32 v10, v1, v5
	v_mul_f32_e32 v48, v0, v5
	v_fma_f32 v47, v0, v4, -v10
	v_fmac_f32_e32 v48, v1, v4
	v_add_co_u32 v4, vcc_lo, 0xa000, v36
	v_add_co_ci_u32_e32 v5, vcc_lo, 0, v58, vcc_lo
	global_load_dwordx2 v[0:1], v[4:5], off offset:40
	s_waitcnt vmcnt(0)
	v_mul_f32_e32 v10, v3, v1
	v_mul_f32_e32 v40, v2, v1
	v_fma_f32 v39, v2, v0, -v10
	v_fmac_f32_e32 v40, v3, v0
	ds_read2_b64 v[0:3], v80 offset0:68 offset1:193
	v_mov_b32_e32 v80, v75
	s_waitcnt lgkmcnt(0)
	v_mul_f32_e32 v10, v1, v7
	v_mul_f32_e32 v44, v0, v7
	;; [unrolled: 1-line block ×3, first 2 shown]
	v_fma_f32 v43, v0, v6, -v10
	v_mul_f32_e32 v0, v3, v13
	v_fmac_f32_e32 v44, v1, v6
	v_fmac_f32_e32 v19, v3, v12
	v_fma_f32 v18, v2, v12, -v0
	ds_read2_b64 v[0:3], v69 offset0:122 offset1:247
	s_waitcnt lgkmcnt(0)
	v_mul_f32_e32 v6, v1, v9
	v_mul_f32_e32 v21, v0, v9
	v_fma_f32 v20, v0, v8, -v6
	v_add_co_u32 v0, vcc_lo, 0x8000, v36
	v_fmac_f32_e32 v21, v1, v8
	v_add_co_ci_u32_e32 v1, vcc_lo, 0, v58, vcc_lo
	v_add_co_u32 v8, vcc_lo, 0xa800, v36
	v_add_co_ci_u32_e32 v9, vcc_lo, 0, v58, vcc_lo
	s_clause 0x3
	global_load_dwordx2 v[22:23], v[0:1], off offset:232
	global_load_dwordx2 v[24:25], v[0:1], off offset:1232
	;; [unrolled: 1-line block ×4, first 2 shown]
	s_waitcnt vmcnt(3)
	v_mul_f32_e32 v0, v3, v23
	v_mul_f32_e32 v29, v2, v23
	v_fma_f32 v28, v2, v22, -v0
	v_fmac_f32_e32 v29, v3, v22
	s_clause 0x1
	global_load_dwordx2 v[22:23], v[4:5], off offset:1040
	global_load_dwordx2 v[4:5], v[4:5], off offset:2040
	v_add_co_u32 v0, vcc_lo, 0xc800, v36
	v_add_co_ci_u32_e32 v1, vcc_lo, 0, v58, vcc_lo
	s_clause 0x1
	global_load_dwordx2 v[30:31], v[0:1], off offset:800
	global_load_dwordx2 v[32:33], v[0:1], off offset:1800
	ds_read2_b64 v[0:3], v74 offset0:92 offset1:217
	v_mov_b32_e32 v74, v78
	s_waitcnt vmcnt(3) lgkmcnt(0)
	v_mul_f32_e32 v6, v1, v23
	v_mul_f32_e32 v35, v0, v23
	s_waitcnt vmcnt(2)
	v_mul_f32_e32 v23, v2, v5
	v_fma_f32 v34, v0, v22, -v6
	v_mul_f32_e32 v0, v3, v5
	v_fmac_f32_e32 v35, v1, v22
	v_fmac_f32_e32 v23, v3, v4
	v_fma_f32 v22, v2, v4, -v0
	ds_read2_b64 v[0:3], v124 offset0:62 offset1:187
	s_waitcnt vmcnt(1) lgkmcnt(0)
	v_mul_f32_e32 v4, v1, v31
	v_mul_f32_e32 v17, v0, v31
	s_waitcnt vmcnt(0)
	v_mul_f32_e32 v31, v2, v33
	v_fma_f32 v16, v0, v30, -v4
	v_mul_f32_e32 v0, v3, v33
	v_fmac_f32_e32 v17, v1, v30
	v_fmac_f32_e32 v31, v3, v32
	v_fma_f32 v30, v2, v32, -v0
	ds_read2_b64 v[0:3], v68 offset0:116 offset1:241
	s_waitcnt lgkmcnt(0)
	v_mul_f32_e32 v4, v1, v25
	v_mul_f32_e32 v33, v0, v25
	v_fma_f32 v32, v0, v24, -v4
	v_add_co_u32 v0, vcc_lo, 0x8800, v36
	v_fmac_f32_e32 v33, v1, v24
	v_add_co_ci_u32_e32 v1, vcc_lo, 0, v58, vcc_lo
	v_add_co_u32 v24, vcc_lo, 0xd000, v36
	v_add_co_ci_u32_e32 v25, vcc_lo, 0, v58, vcc_lo
	s_clause 0x2
	global_load_dwordx2 v[37:38], v[0:1], off offset:184
	global_load_dwordx2 v[211:212], v[0:1], off offset:1184
	;; [unrolled: 1-line block ×3, first 2 shown]
	s_waitcnt vmcnt(2)
	v_mul_f32_e32 v0, v3, v38
	v_mul_f32_e32 v224, v2, v38
	v_fma_f32 v223, v2, v37, -v0
	v_fmac_f32_e32 v224, v3, v37
	ds_read2_b64 v[0:3], v79 offset0:86 offset1:211
	s_waitcnt lgkmcnt(0)
	v_mul_f32_e32 v4, v1, v27
	v_mul_f32_e32 v38, v0, v27
	;; [unrolled: 1-line block ×3, first 2 shown]
	v_fma_f32 v37, v0, v26, -v4
	v_mul_f32_e32 v0, v3, v9
	v_fmac_f32_e32 v38, v1, v26
	v_fmac_f32_e32 v27, v3, v8
	v_fma_f32 v26, v2, v8, -v0
	global_load_dwordx2 v[8:9], v[24:25], off offset:752
	ds_read2_b64 v[0:3], v73 offset0:56 offset1:181
	v_mov_b32_e32 v73, v127
	s_waitcnt vmcnt(1) lgkmcnt(0)
	v_mul_f32_e32 v15, v2, v218
	v_fmac_f32_e32 v15, v3, v217
	s_waitcnt vmcnt(0)
	v_mul_f32_e32 v4, v1, v9
	v_mul_f32_e32 v25, v0, v9
	v_fma_f32 v24, v0, v8, -v4
	v_mul_f32_e32 v0, v3, v218
	v_fmac_f32_e32 v25, v1, v8
	v_fma_f32 v14, v2, v217, -v0
	ds_read2_b64 v[0:3], v126 offset0:110 offset1:235
	s_waitcnt lgkmcnt(0)
	v_mul_f32_e32 v4, v1, v212
	v_mul_f32_e32 v218, v0, v212
	v_fma_f32 v217, v0, v211, -v4
	v_add_co_u32 v0, vcc_lo, 0x9000, v36
	v_fmac_f32_e32 v218, v1, v211
	v_add_co_ci_u32_e32 v1, vcc_lo, 0, v58, vcc_lo
	v_add_co_u32 v211, vcc_lo, 0xb800, v36
	v_add_co_ci_u32_e32 v212, vcc_lo, 0, v58, vcc_lo
	s_clause 0x3
	global_load_dwordx2 v[253:254], v[0:1], off offset:136
	global_load_dwordx2 v[6:7], v[0:1], off offset:1136
	;; [unrolled: 1-line block ×4, first 2 shown]
	s_waitcnt vmcnt(3)
	v_mul_f32_e32 v0, v3, v254
	v_mul_f32_e32 v13, v2, v254
	v_fma_f32 v12, v2, v253, -v0
	v_add_co_u32 v0, vcc_lo, 0xb000, v36
	v_add_co_ci_u32_e32 v1, vcc_lo, 0, v58, vcc_lo
	v_fmac_f32_e32 v13, v3, v253
	s_clause 0x1
	global_load_dwordx2 v[45:46], v[0:1], off offset:944
	global_load_dwordx2 v[253:254], v[0:1], off offset:1944
	v_add_co_u32 v0, vcc_lo, 0xd800, v36
	v_add_co_ci_u32_e32 v1, vcc_lo, 0, v58, vcc_lo
	s_clause 0x1
	global_load_dwordx2 v[4:5], v[0:1], off offset:704
	global_load_dwordx2 v[49:50], v[0:1], off offset:1704
	ds_read2_b64 v[0:3], v75 offset0:80 offset1:205
	s_waitcnt vmcnt(3) lgkmcnt(0)
	v_mul_f32_e32 v8, v1, v46
	v_mul_f32_e32 v11, v0, v46
	s_waitcnt vmcnt(2)
	v_mul_f32_e32 v46, v2, v254
	v_fma_f32 v10, v0, v45, -v8
	v_mul_f32_e32 v0, v3, v254
	v_fmac_f32_e32 v11, v1, v45
	v_fmac_f32_e32 v46, v3, v253
	v_fma_f32 v45, v2, v253, -v0
	ds_read2_b64 v[0:3], v78 offset0:50 offset1:175
	s_waitcnt vmcnt(1) lgkmcnt(0)
	v_mul_f32_e32 v8, v1, v5
	v_mul_f32_e32 v254, v0, v5
	s_waitcnt vmcnt(0)
	v_mul_f32_e32 v9, v2, v50
	v_fma_f32 v253, v0, v4, -v8
	v_mul_f32_e32 v0, v3, v50
	v_fmac_f32_e32 v254, v1, v4
	v_fmac_f32_e32 v9, v3, v49
	v_fma_f32 v8, v2, v49, -v0
	ds_read2_b64 v[0:3], v77 offset0:104 offset1:229
	s_waitcnt lgkmcnt(0)
	v_mul_f32_e32 v4, v1, v7
	v_mul_f32_e32 v50, v0, v7
	;; [unrolled: 1-line block ×3, first 2 shown]
	v_fma_f32 v49, v0, v6, -v4
	v_mul_f32_e32 v0, v3, v52
	v_fmac_f32_e32 v50, v1, v6
	v_fmac_f32_e32 v7, v3, v51
	v_fma_f32 v6, v2, v51, -v0
	ds_read2_b64 v[0:3], v127 offset0:74 offset1:199
	v_mov_b32_e32 v127, v125
	s_waitcnt lgkmcnt(0)
	v_mul_f32_e32 v4, v1, v42
	v_mul_f32_e32 v52, v0, v42
	;; [unrolled: 1-line block ×3, first 2 shown]
	v_fma_f32 v51, v0, v41, -v4
	v_mul_f32_e32 v0, v3, v212
	v_fmac_f32_e32 v52, v1, v41
	v_fmac_f32_e32 v42, v3, v211
	v_fma_f32 v41, v2, v211, -v0
	v_add_co_u32 v0, vcc_lo, 0xe000, v36
	v_add_co_ci_u32_e32 v1, vcc_lo, 0, v58, vcc_lo
	s_clause 0x1
	global_load_dwordx2 v[58:59], v[0:1], off offset:656
	global_load_dwordx2 v[211:212], v[0:1], off offset:1656
	ds_read2_b64 v[0:3], v125 offset0:44 offset1:169
	v_mov_b32_e32 v125, v56
	s_waitcnt vmcnt(1) lgkmcnt(0)
	v_mul_f32_e32 v4, v1, v59
	v_mul_f32_e32 v5, v0, v59
	v_fma_f32 v4, v0, v58, -v4
	s_waitcnt vmcnt(0)
	v_mul_f32_e32 v0, v3, v212
	v_fmac_f32_e32 v5, v1, v58
	v_mul_f32_e32 v1, v2, v212
	v_fma_f32 v0, v2, v211, -v0
	v_add_nc_u32_e32 v2, 0x2800, v192
	v_fmac_f32_e32 v1, v3, v211
	ds_write2_b64 v2, v[39:40], v[34:35] offset0:95 offset1:220
	v_add_nc_u32_e32 v2, 0x5000, v192
	ds_write2_b64 v2, v[18:19], v[16:17] offset0:65 offset1:190
	v_add_nc_u32_e32 v2, 0x800, v192
	;; [unrolled: 2-line block ×7, first 2 shown]
	ds_write2_b64 v2, v[8:9], v[4:5] offset0:47 offset1:172
	ds_write2_b64 v192, v[53:54], v[20:21] offset0:125 offset1:250
	;; [unrolled: 1-line block ×7, first 2 shown]
	ds_write_b64 v192, v[0:1] offset:29000
	s_waitcnt lgkmcnt(0)
	s_barrier
	buffer_gl0_inv
	ds_read2_b64 v[0:3], v192 offset1:125
	ds_read2_b64 v[4:7], v84 offset0:98 offset1:223
	ds_read2_b64 v[8:11], v81 offset0:68 offset1:193
	v_mov_b32_e32 v50, v77
	s_waitcnt lgkmcnt(1)
	v_add_f32_e32 v12, v0, v4
	s_waitcnt lgkmcnt(0)
	v_add_f32_e32 v76, v4, v8
	v_sub_f32_e32 v46, v5, v9
	v_add_f32_e32 v13, v1, v5
	v_add_f32_e32 v52, v5, v9
	v_sub_f32_e32 v47, v4, v8
	v_add_f32_e32 v4, v2, v6
	v_add_f32_e32 v5, v3, v7
	;; [unrolled: 1-line block ×3, first 2 shown]
	v_sub_f32_e32 v49, v7, v11
	v_add_f32_e32 v72, v7, v11
	v_sub_f32_e32 v51, v6, v10
	v_add_f32_e32 v28, v12, v8
	v_add_f32_e32 v29, v13, v9
	;; [unrolled: 1-line block ×4, first 2 shown]
	ds_read2_b64 v[4:7], v69 offset0:122 offset1:247
	ds_read2_b64 v[8:11], v56 offset0:92 offset1:217
	;; [unrolled: 1-line block ×3, first 2 shown]
	v_mov_b32_e32 v124, v79
	v_fma_f32 v0, -0.5, v76, v0
	v_fma_f32 v1, -0.5, v52, v1
	;; [unrolled: 1-line block ×3, first 2 shown]
	v_fmac_f32_e32 v3, -0.5, v72
	s_waitcnt lgkmcnt(1)
	v_add_f32_e32 v16, v4, v8
	s_waitcnt lgkmcnt(0)
	v_add_f32_e32 v68, v8, v12
	v_sub_f32_e32 v53, v9, v13
	v_add_f32_e32 v17, v5, v9
	v_add_f32_e32 v54, v9, v13
	v_sub_f32_e32 v55, v8, v12
	v_add_f32_e32 v8, v6, v10
	v_add_f32_e32 v9, v7, v11
	;; [unrolled: 1-line block ×3, first 2 shown]
	v_sub_f32_e32 v57, v11, v15
	v_add_f32_e32 v58, v11, v15
	v_sub_f32_e32 v59, v10, v14
	v_add_f32_e32 v32, v16, v12
	v_add_f32_e32 v33, v17, v13
	;; [unrolled: 1-line block ×4, first 2 shown]
	ds_read2_b64 v[8:11], v66 offset0:116 offset1:241
	ds_read2_b64 v[12:15], v79 offset0:86 offset1:211
	;; [unrolled: 1-line block ×3, first 2 shown]
	v_mov_b32_e32 v79, v73
	v_fma_f32 v6, -0.5, v56, v6
	v_fmac_f32_e32 v7, -0.5, v58
	s_waitcnt lgkmcnt(1)
	v_add_f32_e32 v20, v8, v12
	s_waitcnt lgkmcnt(0)
	v_add_f32_e32 v60, v12, v16
	v_sub_f32_e32 v61, v13, v17
	v_add_f32_e32 v21, v9, v13
	v_add_f32_e32 v62, v13, v17
	v_sub_f32_e32 v63, v12, v16
	v_add_f32_e32 v12, v10, v14
	v_add_f32_e32 v13, v11, v15
	;; [unrolled: 1-line block ×3, first 2 shown]
	v_sub_f32_e32 v65, v15, v19
	v_add_f32_e32 v66, v15, v19
	v_sub_f32_e32 v67, v14, v18
	v_add_f32_e32 v36, v20, v16
	v_add_f32_e32 v37, v21, v17
	;; [unrolled: 1-line block ×4, first 2 shown]
	ds_read2_b64 v[12:15], v126 offset0:110 offset1:235
	ds_read2_b64 v[16:19], v75 offset0:80 offset1:205
	;; [unrolled: 1-line block ×3, first 2 shown]
	v_fma_f32 v10, -0.5, v64, v10
	v_fmac_f32_e32 v11, -0.5, v66
	v_mov_b32_e32 v126, v74
	s_waitcnt lgkmcnt(1)
	v_add_f32_e32 v24, v12, v16
	s_waitcnt lgkmcnt(0)
	v_add_f32_e32 v193, v16, v20
	v_sub_f32_e32 v194, v17, v21
	v_add_f32_e32 v25, v13, v17
	v_add_f32_e32 v211, v17, v21
	v_sub_f32_e32 v212, v16, v20
	v_add_f32_e32 v16, v14, v18
	v_add_f32_e32 v17, v15, v19
	;; [unrolled: 1-line block ×3, first 2 shown]
	v_sub_f32_e32 v218, v19, v23
	v_add_f32_e32 v223, v19, v23
	v_sub_f32_e32 v224, v18, v22
	v_add_f32_e32 v40, v24, v20
	v_add_f32_e32 v41, v25, v21
	;; [unrolled: 1-line block ×4, first 2 shown]
	ds_read2_b64 v[16:19], v77 offset0:104 offset1:229
	ds_read2_b64 v[20:23], v73 offset0:74 offset1:199
	;; [unrolled: 1-line block ×3, first 2 shown]
	s_waitcnt lgkmcnt(0)
	s_barrier
	buffer_gl0_inv
	v_fma_f32 v14, -0.5, v217, v14
	v_fmac_f32_e32 v15, -0.5, v223
	v_mov_b32_e32 v223, v125
	v_add_f32_e32 v253, v16, v20
	v_add_f32_e32 v254, v20, v24
	v_sub_f32_e32 v44, v20, v24
	v_add_f32_e32 v20, v18, v22
	v_add_f32_e32 v73, v22, v26
	v_sub_f32_e32 v77, v22, v26
	v_add_f32_e32 v69, v17, v21
	v_sub_f32_e32 v45, v21, v25
	v_add_f32_e32 v22, v20, v26
	buffer_load_dword v20, off, s[20:23], 0 offset:252 ; 4-byte Folded Reload
	v_add_f32_e32 v48, v21, v25
	v_add_f32_e32 v70, v253, v24
	;; [unrolled: 1-line block ×3, first 2 shown]
	v_fmamk_f32 v24, v46, 0xbf5db3d7, v0
	v_fmamk_f32 v25, v47, 0x3f5db3d7, v1
	v_fmac_f32_e32 v0, 0x3f5db3d7, v46
	v_fmac_f32_e32 v1, 0xbf5db3d7, v47
	v_add_f32_e32 v21, v23, v27
	v_sub_f32_e32 v74, v23, v27
	v_add_f32_e32 v75, v19, v23
	v_fma_f32 v18, -0.5, v73, v18
	v_fmac_f32_e32 v19, -0.5, v21
	v_add_f32_e32 v23, v75, v27
	s_waitcnt vmcnt(0)
	ds_write2_b64 v20, v[28:29], v[24:25] offset1:1
	ds_write_b64 v20, v[0:1] offset:16
	buffer_load_dword v20, off, s[20:23], 0 offset:256 ; 4-byte Folded Reload
	v_fmamk_f32 v0, v49, 0xbf5db3d7, v2
	v_fmamk_f32 v1, v51, 0x3f5db3d7, v3
	v_fmac_f32_e32 v2, 0x3f5db3d7, v49
	v_fmac_f32_e32 v3, 0xbf5db3d7, v51
	s_waitcnt vmcnt(0)
	ds_write2_b64 v20, v[30:31], v[0:1] offset1:1
	v_fma_f32 v0, -0.5, v68, v4
	buffer_load_dword v4, off, s[20:23], 0 offset:260 ; 4-byte Folded Reload
	v_fma_f32 v1, -0.5, v54, v5
	ds_write_b64 v20, v[2:3] offset:16
	v_fmamk_f32 v2, v53, 0xbf5db3d7, v0
	v_fmac_f32_e32 v0, 0x3f5db3d7, v53
	v_fmamk_f32 v3, v55, 0x3f5db3d7, v1
	v_fmac_f32_e32 v1, 0xbf5db3d7, v55
	s_waitcnt vmcnt(0)
	ds_write2_b64 v4, v[32:33], v[2:3] offset1:1
	buffer_load_dword v2, off, s[20:23], 0 offset:268 ; 4-byte Folded Reload
	ds_write_b64 v4, v[0:1] offset:16
	buffer_load_dword v4, off, s[20:23], 0 offset:264 ; 4-byte Folded Reload
	v_fmamk_f32 v0, v57, 0xbf5db3d7, v6
	v_fmamk_f32 v1, v59, 0x3f5db3d7, v7
	v_fmac_f32_e32 v6, 0x3f5db3d7, v57
	v_fmac_f32_e32 v7, 0xbf5db3d7, v59
	v_mov_b32_e32 v33, v126
	s_waitcnt vmcnt(1)
	ds_write2_b64 v2, v[34:35], v[0:1] offset1:1
	v_fma_f32 v0, -0.5, v60, v8
	v_fma_f32 v1, -0.5, v62, v9
	ds_write_b64 v2, v[6:7] offset:16
	v_fmamk_f32 v2, v61, 0xbf5db3d7, v0
	v_fmamk_f32 v3, v63, 0x3f5db3d7, v1
	v_fmac_f32_e32 v0, 0x3f5db3d7, v61
	v_fmac_f32_e32 v1, 0xbf5db3d7, v63
	s_waitcnt vmcnt(0)
	ds_write2_b64 v4, v[36:37], v[2:3] offset1:1
	buffer_load_dword v2, off, s[20:23], 0 offset:272 ; 4-byte Folded Reload
	ds_write_b64 v4, v[0:1] offset:16
	buffer_load_dword v4, off, s[20:23], 0 offset:276 ; 4-byte Folded Reload
	v_fmamk_f32 v0, v65, 0xbf5db3d7, v10
	v_fmamk_f32 v1, v67, 0x3f5db3d7, v11
	v_fmac_f32_e32 v10, 0x3f5db3d7, v65
	v_fmac_f32_e32 v11, 0xbf5db3d7, v67
	s_waitcnt vmcnt(1)
	ds_write2_b64 v2, v[38:39], v[0:1] offset1:1
	v_fma_f32 v0, -0.5, v193, v12
	v_fma_f32 v1, -0.5, v211, v13
	ds_write_b64 v2, v[10:11] offset:16
	v_mov_b32_e32 v38, v33
	v_mov_b32_e32 v193, v85
	v_fmamk_f32 v2, v194, 0xbf5db3d7, v0
	v_fmamk_f32 v3, v212, 0x3f5db3d7, v1
	v_fmac_f32_e32 v0, 0x3f5db3d7, v194
	v_fmac_f32_e32 v1, 0xbf5db3d7, v212
	v_mov_b32_e32 v194, v84
	s_waitcnt vmcnt(0)
	ds_write2_b64 v4, v[40:41], v[2:3] offset1:1
	buffer_load_dword v2, off, s[20:23], 0 offset:280 ; 4-byte Folded Reload
	ds_write_b64 v4, v[0:1] offset:16
	buffer_load_dword v4, off, s[20:23], 0 offset:284 ; 4-byte Folded Reload
	v_fmamk_f32 v0, v218, 0xbf5db3d7, v14
	v_fmamk_f32 v1, v224, 0x3f5db3d7, v15
	v_fmac_f32_e32 v14, 0x3f5db3d7, v218
	v_fmac_f32_e32 v15, 0xbf5db3d7, v224
	v_mov_b32_e32 v224, v124
	s_waitcnt vmcnt(1)
	ds_write2_b64 v2, v[42:43], v[0:1] offset1:1
	v_fma_f32 v0, -0.5, v254, v16
	v_fma_f32 v1, -0.5, v48, v17
	ds_write_b64 v2, v[14:15] offset:16
	v_fmamk_f32 v2, v45, 0xbf5db3d7, v0
	v_fmamk_f32 v3, v44, 0x3f5db3d7, v1
	v_fmac_f32_e32 v0, 0x3f5db3d7, v45
	v_fmac_f32_e32 v1, 0xbf5db3d7, v44
	s_waitcnt vmcnt(0)
	ds_write2_b64 v4, v[70:71], v[2:3] offset1:1
	buffer_load_dword v2, off, s[20:23], 0 offset:288 ; 4-byte Folded Reload
	ds_write_b64 v4, v[0:1] offset:16
	v_fmamk_f32 v0, v74, 0xbf5db3d7, v18
	v_fmamk_f32 v1, v77, 0x3f5db3d7, v19
	v_fmac_f32_e32 v18, 0x3f5db3d7, v74
	v_fmac_f32_e32 v19, 0xbf5db3d7, v77
	s_waitcnt vmcnt(0)
	ds_write2_b64 v2, v[22:23], v[0:1] offset1:1
	ds_write_b64 v2, v[18:19] offset:16
	s_waitcnt lgkmcnt(0)
	s_barrier
	buffer_gl0_inv
	ds_read2_b64 v[0:3], v82 offset0:110 offset1:235
	ds_read2_b64 v[4:7], v125 offset0:92 offset1:217
	s_waitcnt lgkmcnt(1)
	v_mul_f32_e32 v253, v220, v1
	v_mul_f32_e32 v217, v204, v3
	s_waitcnt lgkmcnt(0)
	v_mul_f32_e32 v218, v206, v7
	v_mul_f32_e32 v254, v222, v5
	v_fmac_f32_e32 v253, v219, v0
	v_mul_f32_e32 v0, v220, v0
	v_fmac_f32_e32 v217, v203, v2
	v_fmac_f32_e32 v218, v205, v6
	;; [unrolled: 1-line block ×3, first 2 shown]
	v_fma_f32 v219, v219, v1, -v0
	v_mul_f32_e32 v0, v222, v4
	v_fma_f32 v220, v221, v5, -v0
	v_mul_f32_e32 v0, v204, v2
	;; [unrolled: 2-line block ×3, first 2 shown]
	v_fma_f32 v204, v205, v7, -v0
	ds_read2_b64 v[0:3], v79 offset0:74 offset1:199
	s_clause 0x3
	buffer_load_dword v6, off, s[20:23], 0 offset:292
	buffer_load_dword v7, off, s[20:23], 0 offset:296
	buffer_load_dword v8, off, s[20:23], 0 offset:300
	buffer_load_dword v9, off, s[20:23], 0 offset:304
	s_waitcnt lgkmcnt(0)
	v_mul_f32_e32 v205, v208, v3
	v_fmac_f32_e32 v205, v207, v2
	s_waitcnt vmcnt(2)
	v_mul_f32_e32 v221, v7, v1
	v_fmac_f32_e32 v221, v6, v0
	v_mul_f32_e32 v0, v7, v0
	v_sub_f32_e32 v31, v254, v221
	v_fma_f32 v211, v6, v1, -v0
	ds_read2_b64 v[4:7], v83 offset0:56 offset1:181
	v_sub_f32_e32 v29, v220, v211
	s_waitcnt vmcnt(0) lgkmcnt(0)
	v_mul_f32_e32 v0, v9, v4
	v_mul_f32_e32 v222, v9, v5
	v_fma_f32 v212, v8, v5, -v0
	v_mul_f32_e32 v0, v208, v2
	v_fmac_f32_e32 v222, v8, v4
	ds_read2_b64 v[8:11], v192 offset1:125
	v_sub_f32_e32 v28, v219, v212
	v_fma_f32 v206, v207, v3, -v0
	v_mul_f32_e32 v0, v210, v6
	v_mul_f32_e32 v207, v210, v7
	v_sub_f32_e32 v30, v253, v222
	v_mov_b32_e32 v210, v80
	v_fma_f32 v208, v209, v7, -v0
	ds_read2_b64 v[0:3], v50 offset0:104 offset1:229
	v_fmac_f32_e32 v207, v209, v6
	ds_read2_b64 v[4:7], v124 offset0:86 offset1:211
	v_mov_b32_e32 v209, v81
	s_waitcnt lgkmcnt(1)
	v_mul_f32_e32 v17, v89, v1
	v_mul_f32_e32 v124, v121, v3
	s_waitcnt lgkmcnt(0)
	v_mul_f32_e32 v19, v91, v5
	v_mul_f32_e32 v125, v123, v7
	v_fmac_f32_e32 v17, v88, v0
	v_mul_f32_e32 v0, v89, v0
	v_fmac_f32_e32 v124, v120, v2
	v_fmac_f32_e32 v19, v90, v4
	v_fmac_f32_e32 v125, v122, v6
	v_fma_f32 v16, v88, v1, -v0
	v_mul_f32_e32 v0, v91, v4
	v_fma_f32 v18, v90, v5, -v0
	v_mul_f32_e32 v0, v121, v2
	;; [unrolled: 2-line block ×3, first 2 shown]
	v_fma_f32 v121, v122, v7, -v0
	ds_read2_b64 v[0:3], v81 offset0:68 offset1:193
	ds_read2_b64 v[4:7], v126 offset0:50 offset1:175
	s_waitcnt lgkmcnt(1)
	v_mul_f32_e32 v123, v117, v1
	s_waitcnt lgkmcnt(0)
	v_mul_f32_e32 v126, v119, v5
	v_fmac_f32_e32 v123, v116, v0
	v_mul_f32_e32 v0, v117, v0
	v_fmac_f32_e32 v126, v118, v4
	v_fma_f32 v122, v116, v1, -v0
	v_mul_f32_e32 v0, v119, v4
	v_mul_f32_e32 v116, v113, v3
	v_fma_f32 v119, v118, v5, -v0
	v_mul_f32_e32 v0, v113, v2
	v_mul_f32_e32 v118, v115, v7
	v_fmac_f32_e32 v116, v112, v2
	v_fma_f32 v117, v112, v3, -v0
	v_mul_f32_e32 v0, v115, v6
	v_fmac_f32_e32 v118, v114, v6
	v_fma_f32 v114, v114, v7, -v0
	ds_read2_b64 v[0:3], v84 offset0:98 offset1:223
	ds_read2_b64 v[4:7], v80 offset0:80 offset1:205
	s_waitcnt lgkmcnt(1)
	v_mul_f32_e32 v112, v105, v1
	v_mul_f32_e32 v13, v101, v3
	s_waitcnt lgkmcnt(0)
	v_mul_f32_e32 v113, v107, v5
	v_mul_f32_e32 v15, v103, v7
	v_fmac_f32_e32 v112, v104, v0
	v_mul_f32_e32 v0, v105, v0
	v_fmac_f32_e32 v13, v100, v2
	v_fmac_f32_e32 v113, v106, v4
	;; [unrolled: 1-line block ×3, first 2 shown]
	v_fma_f32 v104, v104, v1, -v0
	v_mul_f32_e32 v0, v107, v4
	v_fma_f32 v105, v106, v5, -v0
	v_mul_f32_e32 v0, v101, v2
	;; [unrolled: 2-line block ×3, first 2 shown]
	v_fma_f32 v14, v102, v7, -v0
	ds_read2_b64 v[0:3], v85 offset0:62 offset1:187
	ds_read2_b64 v[4:7], v127 offset0:44 offset1:169
	s_waitcnt lgkmcnt(1)
	v_mul_f32_e32 v100, v93, v1
	s_waitcnt lgkmcnt(0)
	v_mul_f32_e32 v101, v95, v5
	v_mul_f32_e32 v36, v196, v3
	;; [unrolled: 1-line block ×3, first 2 shown]
	v_fmac_f32_e32 v100, v92, v0
	v_mul_f32_e32 v0, v93, v0
	v_fmac_f32_e32 v101, v94, v4
	v_fmac_f32_e32 v36, v195, v2
	v_fmac_f32_e32 v88, v197, v6
	v_fma_f32 v92, v92, v1, -v0
	v_mul_f32_e32 v0, v95, v4
	v_sub_f32_e32 v1, v222, v221
	v_fma_f32 v93, v94, v5, -v0
	v_mul_f32_e32 v0, v196, v2
	v_mov_b32_e32 v196, v87
	v_fma_f32 v39, v195, v3, -v0
	v_mul_f32_e32 v0, v198, v6
	v_mov_b32_e32 v195, v86
	v_fma_f32 v89, v197, v7, -v0
	v_sub_f32_e32 v0, v253, v254
	ds_read2_b64 v[4:7], v86 offset0:122 offset1:247
	v_add_f32_e32 v26, v0, v1
	v_add_f32_e32 v0, v8, v253
	;; [unrolled: 1-line block ×11, first 2 shown]
	v_fma_f32 v22, -0.5, v0, v8
	v_fma_f32 v23, -0.5, v1, v9
	v_sub_f32_e32 v0, v219, v220
	v_sub_f32_e32 v1, v212, v211
	v_fmamk_f32 v24, v28, 0xbf737871, v22
	v_fmamk_f32 v25, v30, 0x3f737871, v23
	v_fmac_f32_e32 v22, 0x3f737871, v28
	v_add_f32_e32 v27, v0, v1
	ds_read2_b64 v[0:3], v87 offset0:116 offset1:241
	s_waitcnt lgkmcnt(0)
	s_barrier
	buffer_gl0_inv
	buffer_load_dword v32, off, s[20:23], 0 offset:308 ; 4-byte Folded Reload
	v_fmac_f32_e32 v24, 0xbf167918, v29
	v_fmac_f32_e32 v25, 0x3f167918, v31
	;; [unrolled: 1-line block ×8, first 2 shown]
	v_sub_f32_e32 v26, v206, v208
	v_fmac_f32_e32 v23, 0x3e9e377a, v27
	v_sub_f32_e32 v27, v218, v205
	s_waitcnt vmcnt(0)
	ds_write2_b64 v32, v[20:21], v[24:25] offset1:3
	v_sub_f32_e32 v20, v254, v253
	v_sub_f32_e32 v21, v221, v222
	v_add_f32_e32 v24, v253, v222
	v_sub_f32_e32 v25, v211, v212
	ds_write_b64 v32, v[22:23] offset:96
	v_add_f32_e32 v22, v10, v217
	v_add_f32_e32 v21, v20, v21
	;; [unrolled: 1-line block ×3, first 2 shown]
	v_fma_f32 v8, -0.5, v24, v8
	v_sub_f32_e32 v24, v220, v219
	v_sub_f32_e32 v23, v204, v206
	v_fma_f32 v9, -0.5, v20, v9
	v_fmamk_f32 v20, v29, 0x3f737871, v8
	v_fmac_f32_e32 v8, 0xbf737871, v29
	buffer_load_dword v29, off, s[20:23], 0 offset:312 ; 4-byte Folded Reload
	v_add_f32_e32 v24, v24, v25
	v_add_f32_e32 v25, v11, v203
	v_fmac_f32_e32 v20, 0xbf167918, v28
	v_fmac_f32_e32 v8, 0x3f167918, v28
	v_sub_f32_e32 v28, v217, v207
	v_fmac_f32_e32 v20, 0x3e9e377a, v21
	v_fmac_f32_e32 v8, 0x3e9e377a, v21
	v_fmamk_f32 v21, v31, 0xbf737871, v9
	v_fmac_f32_e32 v9, 0x3f737871, v31
	v_fmac_f32_e32 v21, 0x3f167918, v30
	;; [unrolled: 1-line block ×5, first 2 shown]
	v_sub_f32_e32 v24, v203, v208
	ds_write2_b64 v32, v[20:21], v[8:9] offset0:6 offset1:9
	v_add_f32_e32 v8, v218, v205
	v_add_f32_e32 v9, v217, v207
	v_sub_f32_e32 v20, v205, v207
	v_add_f32_e32 v21, v203, v208
	v_fma_f32 v8, -0.5, v8, v10
	v_fma_f32 v10, -0.5, v9, v10
	v_sub_f32_e32 v9, v218, v217
	v_add_f32_e32 v9, v9, v20
	v_fmamk_f32 v20, v23, 0x3f737871, v10
	v_fmac_f32_e32 v10, 0xbf737871, v23
	v_fmac_f32_e32 v20, 0xbf167918, v24
	;; [unrolled: 1-line block ×5, first 2 shown]
	v_add_f32_e32 v9, v204, v206
	v_fma_f32 v9, -0.5, v9, v11
	v_fmac_f32_e32 v11, -0.5, v21
	v_sub_f32_e32 v21, v204, v203
	v_add_f32_e32 v26, v21, v26
	v_fmamk_f32 v21, v27, 0xbf737871, v11
	v_fmac_f32_e32 v11, 0x3f737871, v27
	v_fmac_f32_e32 v21, 0x3f167918, v28
	;; [unrolled: 1-line block ×5, first 2 shown]
	s_waitcnt vmcnt(0)
	ds_write2_b64 v29, v[20:21], v[10:11] offset0:6 offset1:9
	v_sub_f32_e32 v20, v217, v218
	v_sub_f32_e32 v21, v207, v205
	v_add_f32_e32 v10, v22, v218
	v_add_f32_e32 v11, v25, v204
	v_sub_f32_e32 v22, v203, v204
	v_sub_f32_e32 v25, v208, v206
	v_add_f32_e32 v26, v20, v21
	v_fmamk_f32 v21, v28, 0x3f737871, v9
	v_fmac_f32_e32 v9, 0xbf737871, v28
	buffer_load_dword v28, off, s[20:23], 0 offset:316 ; 4-byte Folded Reload
	v_fmamk_f32 v20, v24, 0xbf737871, v8
	v_fmac_f32_e32 v8, 0x3f737871, v24
	v_add_f32_e32 v10, v10, v205
	v_add_f32_e32 v11, v11, v206
	;; [unrolled: 1-line block ×3, first 2 shown]
	v_fmac_f32_e32 v20, 0xbf167918, v23
	v_fmac_f32_e32 v21, 0x3f167918, v27
	;; [unrolled: 1-line block ×4, first 2 shown]
	v_add_f32_e32 v10, v10, v207
	v_add_f32_e32 v11, v11, v208
	v_fmac_f32_e32 v20, 0x3e9e377a, v26
	v_fmac_f32_e32 v21, 0x3e9e377a, v22
	;; [unrolled: 1-line block ×4, first 2 shown]
	v_sub_f32_e32 v24, v16, v119
	v_sub_f32_e32 v26, v17, v126
	ds_write2_b64 v29, v[10:11], v[20:21] offset1:3
	v_add_f32_e32 v10, v19, v123
	ds_write_b64 v29, v[8:9] offset:96
	v_sub_f32_e32 v8, v17, v19
	v_sub_f32_e32 v9, v126, v123
	v_add_f32_e32 v11, v18, v122
	v_fma_f32 v10, -0.5, v10, v4
	v_sub_f32_e32 v20, v16, v18
	v_sub_f32_e32 v21, v119, v122
	v_add_f32_e32 v22, v8, v9
	v_add_f32_e32 v8, v4, v17
	v_add_f32_e32 v9, v5, v16
	v_fma_f32 v11, -0.5, v11, v5
	v_add_f32_e32 v23, v20, v21
	v_sub_f32_e32 v25, v18, v122
	v_add_f32_e32 v8, v8, v19
	v_add_f32_e32 v9, v9, v18
	v_fmamk_f32 v20, v24, 0xbf737871, v10
	v_fmamk_f32 v21, v26, 0x3f737871, v11
	v_sub_f32_e32 v27, v19, v123
	v_add_f32_e32 v8, v8, v123
	v_add_f32_e32 v9, v9, v122
	v_fmac_f32_e32 v20, 0xbf167918, v25
	v_fmac_f32_e32 v10, 0x3f737871, v24
	v_fmac_f32_e32 v21, 0x3f167918, v27
	v_add_f32_e32 v8, v8, v126
	v_add_f32_e32 v9, v9, v119
	v_fmac_f32_e32 v20, 0x3e9e377a, v22
	v_fmac_f32_e32 v11, 0xbf737871, v26
	;; [unrolled: 1-line block ×7, first 2 shown]
	s_waitcnt vmcnt(0)
	ds_write2_b64 v28, v[8:9], v[20:21] offset1:3
	buffer_load_dword v21, off, s[20:23], 0 offset:324 ; 4-byte Folded Reload
	v_sub_f32_e32 v8, v19, v17
	v_sub_f32_e32 v9, v123, v126
	v_add_f32_e32 v17, v17, v126
	ds_write_b64 v28, v[10:11] offset:96
	v_add_f32_e32 v10, v6, v124
	v_sub_f32_e32 v11, v121, v117
	v_add_f32_e32 v9, v8, v9
	v_add_f32_e32 v8, v16, v119
	v_fma_f32 v4, -0.5, v17, v4
	v_sub_f32_e32 v16, v18, v16
	v_sub_f32_e32 v17, v122, v119
	;; [unrolled: 1-line block ×3, first 2 shown]
	v_fma_f32 v5, -0.5, v8, v5
	v_fmamk_f32 v8, v25, 0x3f737871, v4
	v_fmac_f32_e32 v4, 0xbf737871, v25
	v_add_f32_e32 v16, v16, v17
	v_add_f32_e32 v17, v7, v120
	v_sub_f32_e32 v19, v125, v116
	v_fmac_f32_e32 v8, 0xbf167918, v24
	v_fmac_f32_e32 v4, 0x3f167918, v24
	v_sub_f32_e32 v20, v124, v118
	v_mov_b32_e32 v123, v50
	v_mov_b32_e32 v122, v79
	v_fmac_f32_e32 v8, 0x3e9e377a, v9
	v_fmac_f32_e32 v4, 0x3e9e377a, v9
	v_fmamk_f32 v9, v27, 0xbf737871, v5
	v_fmac_f32_e32 v5, 0x3f737871, v27
	v_fmac_f32_e32 v9, 0x3f167918, v26
	;; [unrolled: 1-line block ×5, first 2 shown]
	v_sub_f32_e32 v16, v120, v114
	ds_write2_b64 v28, v[8:9], v[4:5] offset0:6 offset1:9
	v_add_f32_e32 v4, v125, v116
	v_add_f32_e32 v5, v124, v118
	v_sub_f32_e32 v8, v116, v118
	v_add_f32_e32 v9, v120, v114
	v_fma_f32 v4, -0.5, v4, v6
	v_fma_f32 v6, -0.5, v5, v6
	v_sub_f32_e32 v5, v125, v124
	v_add_f32_e32 v5, v5, v8
	v_fmamk_f32 v8, v11, 0x3f737871, v6
	v_fmac_f32_e32 v6, 0xbf737871, v11
	v_fmac_f32_e32 v8, 0xbf167918, v16
	v_fmac_f32_e32 v6, 0x3f167918, v16
	v_fmac_f32_e32 v8, 0x3e9e377a, v5
	v_fmac_f32_e32 v6, 0x3e9e377a, v5
	v_add_f32_e32 v5, v121, v117
	v_fma_f32 v5, -0.5, v5, v7
	v_fmac_f32_e32 v7, -0.5, v9
	v_sub_f32_e32 v9, v121, v120
	v_add_f32_e32 v18, v9, v18
	v_fmamk_f32 v9, v19, 0xbf737871, v7
	v_fmac_f32_e32 v7, 0x3f737871, v19
	v_fmac_f32_e32 v9, 0x3f167918, v20
	;; [unrolled: 1-line block ×5, first 2 shown]
	s_waitcnt vmcnt(0)
	ds_write2_b64 v21, v[8:9], v[6:7] offset0:6 offset1:9
	v_sub_f32_e32 v8, v124, v125
	v_sub_f32_e32 v9, v118, v116
	v_add_f32_e32 v6, v10, v125
	v_add_f32_e32 v7, v17, v121
	v_sub_f32_e32 v10, v120, v121
	v_sub_f32_e32 v17, v114, v117
	v_add_f32_e32 v18, v8, v9
	v_fmamk_f32 v9, v20, 0x3f737871, v5
	v_fmac_f32_e32 v5, 0xbf737871, v20
	buffer_load_dword v20, off, s[20:23], 0 offset:328 ; 4-byte Folded Reload
	v_fmamk_f32 v8, v16, 0xbf737871, v4
	v_fmac_f32_e32 v4, 0x3f737871, v16
	v_add_f32_e32 v6, v6, v116
	v_add_f32_e32 v7, v7, v117
	;; [unrolled: 1-line block ×3, first 2 shown]
	v_fmac_f32_e32 v8, 0xbf167918, v11
	v_fmac_f32_e32 v9, 0x3f167918, v19
	;; [unrolled: 1-line block ×4, first 2 shown]
	v_add_f32_e32 v6, v6, v118
	v_add_f32_e32 v7, v7, v114
	v_fmac_f32_e32 v8, 0x3e9e377a, v18
	v_fmac_f32_e32 v9, 0x3e9e377a, v10
	v_fmac_f32_e32 v4, 0x3e9e377a, v18
	v_fmac_f32_e32 v5, 0x3e9e377a, v10
	v_sub_f32_e32 v16, v104, v93
	v_sub_f32_e32 v18, v112, v101
	ds_write2_b64 v21, v[6:7], v[8:9] offset1:3
	v_add_f32_e32 v6, v113, v100
	ds_write_b64 v21, v[4:5] offset:96
	v_sub_f32_e32 v4, v112, v113
	v_sub_f32_e32 v5, v101, v100
	v_add_f32_e32 v7, v105, v92
	v_fma_f32 v6, -0.5, v6, v0
	v_sub_f32_e32 v8, v104, v105
	v_sub_f32_e32 v9, v93, v92
	v_add_f32_e32 v10, v4, v5
	v_add_f32_e32 v4, v0, v112
	;; [unrolled: 1-line block ×3, first 2 shown]
	v_fma_f32 v7, -0.5, v7, v1
	v_add_f32_e32 v11, v8, v9
	v_sub_f32_e32 v17, v105, v92
	v_add_f32_e32 v4, v4, v113
	v_add_f32_e32 v5, v5, v105
	v_fmamk_f32 v8, v16, 0xbf737871, v6
	v_fmamk_f32 v9, v18, 0x3f737871, v7
	v_sub_f32_e32 v19, v113, v100
	v_add_f32_e32 v4, v4, v100
	v_add_f32_e32 v5, v5, v92
	v_fmac_f32_e32 v8, 0xbf167918, v17
	v_fmac_f32_e32 v6, 0x3f737871, v16
	;; [unrolled: 1-line block ×3, first 2 shown]
	v_add_f32_e32 v4, v4, v101
	v_add_f32_e32 v5, v5, v93
	v_fmac_f32_e32 v8, 0x3e9e377a, v10
	v_fmac_f32_e32 v6, 0x3f167918, v17
	;; [unrolled: 1-line block ×4, first 2 shown]
	v_mov_b32_e32 v124, v83
	v_fmac_f32_e32 v6, 0x3e9e377a, v10
	v_sub_f32_e32 v10, v39, v89
	v_fmac_f32_e32 v7, 0xbf167918, v19
	v_fmac_f32_e32 v7, 0x3e9e377a, v11
	v_sub_f32_e32 v11, v15, v36
	s_waitcnt vmcnt(0)
	ds_write2_b64 v20, v[4:5], v[8:9] offset1:3
	v_sub_f32_e32 v4, v113, v112
	v_sub_f32_e32 v5, v100, v101
	v_add_f32_e32 v8, v112, v101
	v_sub_f32_e32 v9, v92, v93
	ds_write_b64 v20, v[6:7] offset:96
	v_add_f32_e32 v6, v2, v13
	v_add_f32_e32 v5, v4, v5
	;; [unrolled: 1-line block ×3, first 2 shown]
	v_fma_f32 v0, -0.5, v8, v0
	v_sub_f32_e32 v8, v105, v104
	v_sub_f32_e32 v7, v14, v39
	v_fma_f32 v1, -0.5, v4, v1
	v_fmamk_f32 v4, v17, 0x3f737871, v0
	v_fmac_f32_e32 v0, 0xbf737871, v17
	buffer_load_dword v17, off, s[20:23], 0 offset:320 ; 4-byte Folded Reload
	v_add_f32_e32 v8, v8, v9
	v_add_f32_e32 v9, v3, v12
	v_fmac_f32_e32 v4, 0xbf167918, v16
	v_fmac_f32_e32 v0, 0x3f167918, v16
	v_sub_f32_e32 v16, v13, v88
	v_fmac_f32_e32 v4, 0x3e9e377a, v5
	v_fmac_f32_e32 v0, 0x3e9e377a, v5
	v_fmamk_f32 v5, v19, 0xbf737871, v1
	v_fmac_f32_e32 v1, 0x3f737871, v19
	v_fmac_f32_e32 v5, 0x3f167918, v18
	;; [unrolled: 1-line block ×5, first 2 shown]
	v_sub_f32_e32 v8, v12, v89
	ds_write2_b64 v20, v[4:5], v[0:1] offset0:6 offset1:9
	v_add_f32_e32 v0, v15, v36
	v_add_f32_e32 v1, v13, v88
	v_sub_f32_e32 v4, v36, v88
	v_add_f32_e32 v5, v12, v89
	v_fma_f32 v0, -0.5, v0, v2
	v_fma_f32 v2, -0.5, v1, v2
	v_sub_f32_e32 v1, v15, v13
	v_add_f32_e32 v1, v1, v4
	v_fmamk_f32 v4, v7, 0x3f737871, v2
	v_fmac_f32_e32 v2, 0xbf737871, v7
	v_fmac_f32_e32 v4, 0xbf167918, v8
	;; [unrolled: 1-line block ×5, first 2 shown]
	v_add_f32_e32 v1, v14, v39
	v_fma_f32 v1, -0.5, v1, v3
	v_fmac_f32_e32 v3, -0.5, v5
	v_sub_f32_e32 v5, v14, v12
	v_add_f32_e32 v10, v5, v10
	v_fmamk_f32 v5, v11, 0xbf737871, v3
	v_fmac_f32_e32 v3, 0x3f737871, v11
	v_fmac_f32_e32 v5, 0x3f167918, v16
	;; [unrolled: 1-line block ×5, first 2 shown]
	s_waitcnt vmcnt(0)
	ds_write2_b64 v17, v[4:5], v[2:3] offset0:6 offset1:9
	v_sub_f32_e32 v4, v13, v15
	v_sub_f32_e32 v5, v88, v36
	v_add_f32_e32 v2, v6, v15
	v_add_f32_e32 v3, v9, v14
	v_sub_f32_e32 v6, v12, v14
	v_sub_f32_e32 v9, v89, v39
	v_add_f32_e32 v10, v4, v5
	v_fmamk_f32 v4, v8, 0xbf737871, v0
	v_fmamk_f32 v5, v16, 0x3f737871, v1
	v_fmac_f32_e32 v0, 0x3f737871, v8
	v_fmac_f32_e32 v1, 0xbf737871, v16
	v_add_f32_e32 v2, v2, v36
	v_add_f32_e32 v3, v3, v39
	;; [unrolled: 1-line block ×3, first 2 shown]
	v_fmac_f32_e32 v4, 0xbf167918, v7
	v_fmac_f32_e32 v5, 0x3f167918, v11
	;; [unrolled: 1-line block ×4, first 2 shown]
	v_add_f32_e32 v2, v2, v88
	v_add_f32_e32 v3, v3, v89
	v_fmac_f32_e32 v4, 0x3e9e377a, v10
	v_fmac_f32_e32 v5, 0x3e9e377a, v6
	;; [unrolled: 1-line block ×4, first 2 shown]
	ds_write2_b64 v17, v[2:3], v[4:5] offset1:3
	ds_write_b64 v17, v[0:1] offset:96
	s_waitcnt lgkmcnt(0)
	s_barrier
	buffer_gl0_inv
	ds_read2_b64 v[0:3], v82 offset0:110 offset1:235
	s_clause 0x3
	buffer_load_dword v6, off, s[20:23], 0 offset:424
	buffer_load_dword v7, off, s[20:23], 0 offset:428
	;; [unrolled: 1-line block ×4, first 2 shown]
	s_waitcnt vmcnt(2) lgkmcnt(0)
	v_mul_f32_e32 v115, v7, v1
	v_fmac_f32_e32 v115, v6, v0
	v_mul_f32_e32 v0, v7, v0
	v_fma_f32 v114, v6, v1, -v0
	ds_read2_b64 v[4:7], v223 offset0:92 offset1:217
	s_waitcnt vmcnt(0) lgkmcnt(0)
	v_mul_f32_e32 v117, v9, v5
	v_mul_f32_e32 v0, v9, v4
	v_fmac_f32_e32 v117, v8, v4
	v_fma_f32 v116, v8, v5, -v0
	s_clause 0x3
	buffer_load_dword v8, off, s[20:23], 0 offset:536
	buffer_load_dword v9, off, s[20:23], 0 offset:540
	;; [unrolled: 1-line block ×4, first 2 shown]
	s_waitcnt vmcnt(2)
	v_mul_f32_e32 v0, v9, v2
	v_mul_f32_e32 v18, v9, v3
	s_waitcnt vmcnt(0)
	v_mul_f32_e32 v19, v11, v7
	v_fma_f32 v16, v8, v3, -v0
	v_mul_f32_e32 v0, v11, v6
	v_fmac_f32_e32 v18, v8, v2
	v_fmac_f32_e32 v19, v10, v6
	v_fma_f32 v17, v10, v7, -v0
	ds_read2_b64 v[0:3], v79 offset0:74 offset1:199
	s_clause 0x3
	buffer_load_dword v6, off, s[20:23], 0 offset:464
	buffer_load_dword v7, off, s[20:23], 0 offset:468
	;; [unrolled: 1-line block ×4, first 2 shown]
	s_waitcnt vmcnt(2) lgkmcnt(0)
	v_mul_f32_e32 v119, v7, v1
	v_fmac_f32_e32 v119, v6, v0
	v_mul_f32_e32 v0, v7, v0
	v_sub_f32_e32 v35, v117, v119
	v_fma_f32 v118, v6, v1, -v0
	ds_read2_b64 v[4:7], v83 offset0:56 offset1:181
	s_waitcnt vmcnt(0) lgkmcnt(0)
	v_mul_f32_e32 v121, v9, v5
	v_mul_f32_e32 v0, v9, v4
	v_fmac_f32_e32 v121, v8, v4
	v_fma_f32 v120, v8, v5, -v0
	s_clause 0x3
	buffer_load_dword v8, off, s[20:23], 0 offset:448
	buffer_load_dword v9, off, s[20:23], 0 offset:452
	;; [unrolled: 1-line block ×4, first 2 shown]
	v_sub_f32_e32 v34, v115, v121
	v_sub_f32_e32 v32, v114, v120
	s_waitcnt vmcnt(2)
	v_mul_f32_e32 v0, v9, v2
	v_mul_f32_e32 v106, v9, v3
	s_waitcnt vmcnt(0)
	v_mul_f32_e32 v112, v11, v7
	v_fma_f32 v107, v8, v3, -v0
	v_mul_f32_e32 v0, v11, v6
	v_fmac_f32_e32 v106, v8, v2
	v_fmac_f32_e32 v112, v10, v6
	v_fma_f32 v113, v10, v7, -v0
	ds_read2_b64 v[0:3], v50 offset0:104 offset1:229
	ds_read2_b64 v[4:7], v224 offset0:86 offset1:211
	ds_read2_b64 v[8:11], v192 offset1:125
	s_waitcnt lgkmcnt(2)
	v_mul_f32_e32 v94, v157, v1
	v_mul_f32_e32 v48, v153, v3
	s_waitcnt lgkmcnt(1)
	v_mul_f32_e32 v100, v159, v5
	v_mul_f32_e32 v51, v155, v7
	v_fmac_f32_e32 v94, v156, v0
	v_mul_f32_e32 v0, v157, v0
	v_fmac_f32_e32 v48, v152, v2
	v_fmac_f32_e32 v100, v158, v4
	;; [unrolled: 1-line block ×3, first 2 shown]
	v_fma_f32 v95, v156, v1, -v0
	v_mul_f32_e32 v0, v159, v4
	v_fma_f32 v101, v158, v5, -v0
	v_mul_f32_e32 v0, v153, v2
	;; [unrolled: 2-line block ×3, first 2 shown]
	v_fma_f32 v49, v154, v7, -v0
	ds_read2_b64 v[0:3], v81 offset0:68 offset1:193
	ds_read2_b64 v[4:7], v33 offset0:50 offset1:175
	v_sub_f32_e32 v33, v116, v118
	s_waitcnt lgkmcnt(1)
	v_mul_f32_e32 v103, v149, v1
	v_mul_f32_e32 v90, v145, v3
	s_waitcnt lgkmcnt(0)
	v_mul_f32_e32 v105, v151, v5
	v_mul_f32_e32 v92, v147, v7
	v_fmac_f32_e32 v103, v148, v0
	v_mul_f32_e32 v0, v149, v0
	v_fmac_f32_e32 v90, v144, v2
	v_fmac_f32_e32 v105, v150, v4
	v_fmac_f32_e32 v92, v146, v6
	v_fma_f32 v102, v148, v1, -v0
	v_mul_f32_e32 v0, v151, v4
	v_fma_f32 v104, v150, v5, -v0
	v_mul_f32_e32 v0, v145, v2
	;; [unrolled: 2-line block ×3, first 2 shown]
	v_fma_f32 v93, v146, v7, -v0
	ds_read2_b64 v[0:3], v84 offset0:98 offset1:223
	ds_read2_b64 v[4:7], v80 offset0:80 offset1:205
	s_waitcnt lgkmcnt(1)
	v_mul_f32_e32 v36, v141, v1
	v_mul_f32_e32 v13, v137, v3
	s_waitcnt lgkmcnt(0)
	v_mul_f32_e32 v40, v143, v5
	v_mul_f32_e32 v15, v139, v7
	v_fmac_f32_e32 v36, v140, v0
	v_mul_f32_e32 v0, v141, v0
	v_fmac_f32_e32 v13, v136, v2
	v_fmac_f32_e32 v40, v142, v4
	;; [unrolled: 1-line block ×3, first 2 shown]
	v_fma_f32 v39, v140, v1, -v0
	v_mul_f32_e32 v0, v143, v4
	v_fma_f32 v41, v142, v5, -v0
	v_mul_f32_e32 v0, v137, v2
	;; [unrolled: 2-line block ×3, first 2 shown]
	v_fma_f32 v14, v138, v7, -v0
	ds_read2_b64 v[0:3], v85 offset0:62 offset1:187
	ds_read2_b64 v[4:7], v127 offset0:44 offset1:169
	s_waitcnt lgkmcnt(1)
	v_mul_f32_e32 v50, v133, v1
	s_waitcnt lgkmcnt(0)
	v_mul_f32_e32 v89, v135, v5
	v_mul_f32_e32 v20, v129, v3
	;; [unrolled: 1-line block ×3, first 2 shown]
	v_fmac_f32_e32 v50, v132, v0
	v_mul_f32_e32 v0, v133, v0
	v_fmac_f32_e32 v89, v134, v4
	v_fmac_f32_e32 v20, v128, v2
	v_fmac_f32_e32 v22, v130, v6
	v_fma_f32 v43, v132, v1, -v0
	v_mul_f32_e32 v0, v135, v4
	v_sub_f32_e32 v1, v121, v119
	v_fma_f32 v88, v134, v5, -v0
	v_mul_f32_e32 v0, v129, v2
	v_fma_f32 v21, v128, v3, -v0
	v_mul_f32_e32 v0, v131, v6
	v_fma_f32 v23, v130, v7, -v0
	v_sub_f32_e32 v0, v115, v117
	v_add_f32_e32 v30, v0, v1
	v_add_f32_e32 v0, v8, v115
	;; [unrolled: 1-line block ×11, first 2 shown]
	v_fma_f32 v26, -0.5, v0, v8
	v_fma_f32 v27, -0.5, v1, v9
	v_sub_f32_e32 v0, v114, v116
	v_sub_f32_e32 v1, v120, v118
	v_fmamk_f32 v28, v32, 0xbf737871, v26
	v_fmamk_f32 v29, v34, 0x3f737871, v27
	v_fmac_f32_e32 v26, 0x3f737871, v32
	v_add_f32_e32 v31, v0, v1
	ds_read2_b64 v[4:7], v86 offset0:122 offset1:247
	ds_read2_b64 v[0:3], v87 offset0:116 offset1:241
	s_waitcnt lgkmcnt(0)
	s_barrier
	buffer_gl0_inv
	buffer_load_dword v37, off, s[20:23], 0 offset:444 ; 4-byte Folded Reload
	v_fmac_f32_e32 v28, 0xbf167918, v33
	v_fmac_f32_e32 v29, 0x3f167918, v35
	;; [unrolled: 1-line block ×4, first 2 shown]
	buffer_load_dword v81, off, s[20:23], 0 offset:532 ; 4-byte Folded Reload
	v_fmac_f32_e32 v28, 0x3e9e377a, v30
	v_fmac_f32_e32 v29, 0x3e9e377a, v31
	;; [unrolled: 1-line block ×4, first 2 shown]
	v_sub_f32_e32 v30, v107, v113
	v_fmac_f32_e32 v27, 0x3e9e377a, v31
	v_sub_f32_e32 v31, v19, v106
	s_waitcnt vmcnt(1)
	ds_write2_b64 v37, v[24:25], v[28:29] offset1:15
	v_sub_f32_e32 v24, v117, v115
	v_sub_f32_e32 v25, v119, v121
	v_add_f32_e32 v28, v115, v121
	v_sub_f32_e32 v29, v118, v120
	ds_write_b64 v37, v[26:27] offset:480
	v_add_f32_e32 v26, v10, v18
	v_add_f32_e32 v25, v24, v25
	;; [unrolled: 1-line block ×3, first 2 shown]
	v_fma_f32 v8, -0.5, v28, v8
	v_sub_f32_e32 v28, v116, v114
	v_sub_f32_e32 v27, v17, v107
	v_fma_f32 v9, -0.5, v24, v9
	v_fmamk_f32 v24, v33, 0x3f737871, v8
	v_fmac_f32_e32 v8, 0xbf737871, v33
	v_add_f32_e32 v28, v28, v29
	v_add_f32_e32 v29, v11, v16
	v_fmac_f32_e32 v24, 0xbf167918, v32
	v_fmac_f32_e32 v8, 0x3f167918, v32
	v_sub_f32_e32 v32, v18, v112
	v_fmac_f32_e32 v24, 0x3e9e377a, v25
	v_fmac_f32_e32 v8, 0x3e9e377a, v25
	v_fmamk_f32 v25, v35, 0xbf737871, v9
	v_fmac_f32_e32 v9, 0x3f737871, v35
	v_fmac_f32_e32 v25, 0x3f167918, v34
	;; [unrolled: 1-line block ×5, first 2 shown]
	v_sub_f32_e32 v28, v16, v113
	ds_write2_b64 v37, v[24:25], v[8:9] offset0:30 offset1:45
	v_add_f32_e32 v8, v19, v106
	v_add_f32_e32 v9, v18, v112
	v_sub_f32_e32 v24, v106, v112
	v_add_f32_e32 v25, v16, v113
	v_fma_f32 v8, -0.5, v8, v10
	v_fma_f32 v10, -0.5, v9, v10
	v_sub_f32_e32 v9, v19, v18
	v_sub_f32_e32 v18, v18, v19
	v_add_f32_e32 v9, v9, v24
	v_fmamk_f32 v24, v27, 0x3f737871, v10
	v_fmac_f32_e32 v10, 0xbf737871, v27
	v_fmac_f32_e32 v24, 0xbf167918, v28
	;; [unrolled: 1-line block ×5, first 2 shown]
	v_add_f32_e32 v9, v17, v107
	v_fma_f32 v9, -0.5, v9, v11
	v_fmac_f32_e32 v11, -0.5, v25
	v_sub_f32_e32 v25, v17, v16
	v_sub_f32_e32 v16, v16, v17
	v_add_f32_e32 v30, v25, v30
	v_fmamk_f32 v25, v31, 0xbf737871, v11
	v_fmac_f32_e32 v11, 0x3f737871, v31
	v_fmac_f32_e32 v25, 0x3f167918, v32
	;; [unrolled: 1-line block ×5, first 2 shown]
	buffer_load_dword v30, off, s[20:23], 0 offset:496 ; 4-byte Folded Reload
	s_waitcnt vmcnt(0)
	ds_write2_b64 v30, v[24:25], v[10:11] offset0:30 offset1:45
	v_add_f32_e32 v11, v29, v17
	buffer_load_dword v29, off, s[20:23], 0 offset:368 ; 4-byte Folded Reload
	v_add_f32_e32 v10, v26, v19
	v_sub_f32_e32 v19, v112, v106
	v_sub_f32_e32 v17, v113, v107
	v_add_f32_e32 v11, v11, v107
	v_sub_f32_e32 v24, v95, v104
	v_add_f32_e32 v10, v10, v106
	v_add_f32_e32 v18, v18, v19
	;; [unrolled: 1-line block ×3, first 2 shown]
	v_fmamk_f32 v16, v28, 0xbf737871, v8
	v_fmamk_f32 v17, v32, 0x3f737871, v9
	v_fmac_f32_e32 v8, 0x3f737871, v28
	v_fmac_f32_e32 v9, 0xbf737871, v32
	v_add_f32_e32 v10, v10, v112
	v_fmac_f32_e32 v16, 0xbf167918, v27
	v_fmac_f32_e32 v17, 0x3f167918, v31
	;; [unrolled: 1-line block ×4, first 2 shown]
	v_add_f32_e32 v11, v11, v113
	v_fmac_f32_e32 v16, 0x3e9e377a, v18
	v_fmac_f32_e32 v17, 0x3e9e377a, v19
	;; [unrolled: 1-line block ×4, first 2 shown]
	v_sub_f32_e32 v26, v94, v105
	v_sub_f32_e32 v25, v101, v102
	ds_write2_b64 v30, v[10:11], v[16:17] offset1:15
	v_add_f32_e32 v10, v100, v103
	ds_write_b64 v30, v[8:9] offset:480
	v_sub_f32_e32 v8, v94, v100
	v_sub_f32_e32 v9, v105, v103
	v_add_f32_e32 v11, v101, v102
	v_fma_f32 v10, -0.5, v10, v4
	v_sub_f32_e32 v16, v95, v101
	v_sub_f32_e32 v17, v104, v102
	v_add_f32_e32 v18, v8, v9
	v_add_f32_e32 v8, v4, v94
	v_add_f32_e32 v9, v5, v95
	v_fma_f32 v11, -0.5, v11, v5
	v_add_f32_e32 v19, v16, v17
	v_fmamk_f32 v16, v24, 0xbf737871, v10
	v_add_f32_e32 v8, v8, v100
	v_add_f32_e32 v9, v9, v101
	v_fmamk_f32 v17, v26, 0x3f737871, v11
	v_sub_f32_e32 v27, v100, v103
	v_fmac_f32_e32 v16, 0xbf167918, v25
	v_add_f32_e32 v8, v8, v103
	v_add_f32_e32 v9, v9, v102
	v_sub_f32_e32 v28, v102, v104
	v_fmac_f32_e32 v17, 0x3f167918, v27
	v_fmac_f32_e32 v16, 0x3e9e377a, v18
	v_add_f32_e32 v8, v8, v105
	v_add_f32_e32 v9, v9, v104
	v_fmac_f32_e32 v10, 0x3f737871, v24
	v_fmac_f32_e32 v17, 0x3e9e377a, v19
	;; [unrolled: 1-line block ×6, first 2 shown]
	v_sub_f32_e32 v18, v42, v93
	v_fmac_f32_e32 v11, 0x3e9e377a, v19
	v_sub_f32_e32 v19, v51, v90
	s_waitcnt vmcnt(0)
	ds_write2_b64 v29, v[8:9], v[16:17] offset1:15
	v_sub_f32_e32 v8, v100, v94
	v_sub_f32_e32 v9, v103, v105
	v_add_f32_e32 v16, v94, v105
	v_add_f32_e32 v17, v95, v104
	ds_write_b64 v29, v[10:11] offset:480
	v_add_f32_e32 v10, v6, v48
	v_add_f32_e32 v9, v8, v9
	v_sub_f32_e32 v8, v101, v95
	v_fma_f32 v4, -0.5, v16, v4
	v_fma_f32 v5, -0.5, v17, v5
	v_add_f32_e32 v11, v7, v42
	v_sub_f32_e32 v17, v49, v91
	v_add_f32_e32 v16, v8, v28
	v_fmamk_f32 v8, v25, 0x3f737871, v4
	v_fmac_f32_e32 v4, 0xbf737871, v25
	buffer_load_dword v25, off, s[20:23], 0 offset:504 ; 4-byte Folded Reload
	v_mov_b32_e32 v105, v38
	v_mov_b32_e32 v104, v82
	v_fmac_f32_e32 v8, 0xbf167918, v24
	v_fmac_f32_e32 v4, 0x3f167918, v24
	v_sub_f32_e32 v24, v48, v92
	v_fmac_f32_e32 v8, 0x3e9e377a, v9
	v_fmac_f32_e32 v4, 0x3e9e377a, v9
	v_fmamk_f32 v9, v27, 0xbf737871, v5
	v_fmac_f32_e32 v5, 0x3f737871, v27
	v_fmac_f32_e32 v9, 0x3f167918, v26
	;; [unrolled: 1-line block ×5, first 2 shown]
	v_sub_f32_e32 v16, v91, v93
	ds_write2_b64 v29, v[8:9], v[4:5] offset0:30 offset1:45
	v_add_f32_e32 v4, v51, v90
	v_add_f32_e32 v5, v48, v92
	v_sub_f32_e32 v8, v90, v92
	v_fma_f32 v4, -0.5, v4, v6
	v_fma_f32 v6, -0.5, v5, v6
	v_sub_f32_e32 v5, v51, v48
	v_add_f32_e32 v9, v5, v8
	v_add_f32_e32 v5, v49, v91
	;; [unrolled: 1-line block ×3, first 2 shown]
	v_fma_f32 v5, -0.5, v5, v7
	v_fmac_f32_e32 v7, -0.5, v8
	v_sub_f32_e32 v8, v49, v42
	v_add_f32_e32 v16, v8, v16
	v_fmamk_f32 v8, v17, 0x3f737871, v6
	v_fmac_f32_e32 v6, 0xbf737871, v17
	v_fmac_f32_e32 v8, 0xbf167918, v18
	;; [unrolled: 1-line block ×5, first 2 shown]
	v_fmamk_f32 v9, v19, 0xbf737871, v7
	v_fmac_f32_e32 v7, 0x3f737871, v19
	v_fmac_f32_e32 v9, 0x3f167918, v24
	;; [unrolled: 1-line block ×5, first 2 shown]
	ds_write2_b64 v81, v[8:9], v[6:7] offset0:30 offset1:45
	v_sub_f32_e32 v8, v48, v51
	v_sub_f32_e32 v9, v92, v90
	v_add_f32_e32 v6, v10, v51
	v_add_f32_e32 v7, v11, v49
	v_sub_f32_e32 v10, v42, v49
	v_sub_f32_e32 v11, v93, v91
	v_add_f32_e32 v16, v8, v9
	v_fmamk_f32 v8, v18, 0xbf737871, v4
	v_fmamk_f32 v9, v24, 0x3f737871, v5
	v_fmac_f32_e32 v4, 0x3f737871, v18
	v_fmac_f32_e32 v5, 0xbf737871, v24
	v_add_f32_e32 v6, v6, v90
	v_add_f32_e32 v7, v7, v91
	;; [unrolled: 1-line block ×3, first 2 shown]
	v_fmac_f32_e32 v8, 0xbf167918, v17
	v_fmac_f32_e32 v9, 0x3f167918, v19
	;; [unrolled: 1-line block ×4, first 2 shown]
	v_add_f32_e32 v6, v6, v92
	v_add_f32_e32 v7, v7, v93
	v_fmac_f32_e32 v8, 0x3e9e377a, v16
	v_fmac_f32_e32 v9, 0x3e9e377a, v10
	;; [unrolled: 1-line block ×4, first 2 shown]
	v_sub_f32_e32 v16, v39, v88
	v_sub_f32_e32 v18, v36, v89
	ds_write2_b64 v81, v[6:7], v[8:9] offset1:15
	v_add_f32_e32 v6, v40, v50
	ds_write_b64 v81, v[4:5] offset:480
	v_sub_f32_e32 v4, v36, v40
	v_sub_f32_e32 v5, v89, v50
	v_add_f32_e32 v7, v41, v43
	v_fma_f32 v6, -0.5, v6, v0
	v_sub_f32_e32 v8, v39, v41
	v_sub_f32_e32 v9, v88, v43
	v_add_f32_e32 v10, v4, v5
	v_add_f32_e32 v4, v0, v36
	;; [unrolled: 1-line block ×3, first 2 shown]
	v_fma_f32 v7, -0.5, v7, v1
	v_add_f32_e32 v11, v8, v9
	v_sub_f32_e32 v17, v41, v43
	v_add_f32_e32 v4, v4, v40
	v_add_f32_e32 v5, v5, v41
	v_fmamk_f32 v8, v16, 0xbf737871, v6
	v_fmamk_f32 v9, v18, 0x3f737871, v7
	v_sub_f32_e32 v19, v40, v50
	v_add_f32_e32 v4, v4, v50
	v_add_f32_e32 v5, v5, v43
	v_fmac_f32_e32 v8, 0xbf167918, v17
	v_sub_f32_e32 v24, v43, v88
	v_fmac_f32_e32 v9, 0x3f167918, v19
	v_add_f32_e32 v4, v4, v89
	v_add_f32_e32 v5, v5, v88
	v_fmac_f32_e32 v8, 0x3e9e377a, v10
	v_fmac_f32_e32 v6, 0x3f737871, v16
	;; [unrolled: 1-line block ×7, first 2 shown]
	v_sub_f32_e32 v10, v12, v23
	v_fmac_f32_e32 v7, 0x3e9e377a, v11
	v_sub_f32_e32 v11, v15, v20
	s_waitcnt vmcnt(0)
	ds_write2_b64 v25, v[4:5], v[8:9] offset1:15
	v_sub_f32_e32 v4, v40, v36
	v_sub_f32_e32 v5, v50, v89
	v_add_f32_e32 v8, v36, v89
	v_add_f32_e32 v9, v39, v88
	ds_write_b64 v25, v[6:7] offset:480
	v_add_f32_e32 v6, v2, v13
	v_add_f32_e32 v5, v4, v5
	v_sub_f32_e32 v4, v41, v39
	v_fma_f32 v0, -0.5, v8, v0
	v_fma_f32 v1, -0.5, v9, v1
	v_add_f32_e32 v7, v3, v12
	v_sub_f32_e32 v9, v14, v21
	v_add_f32_e32 v8, v4, v24
	v_fmamk_f32 v4, v17, 0x3f737871, v0
	v_fmac_f32_e32 v0, 0xbf737871, v17
	buffer_load_dword v17, off, s[20:23], 0 offset:500 ; 4-byte Folded Reload
	v_fmac_f32_e32 v4, 0xbf167918, v16
	v_fmac_f32_e32 v0, 0x3f167918, v16
	v_sub_f32_e32 v16, v13, v22
	v_fmac_f32_e32 v4, 0x3e9e377a, v5
	v_fmac_f32_e32 v0, 0x3e9e377a, v5
	v_fmamk_f32 v5, v19, 0xbf737871, v1
	v_fmac_f32_e32 v1, 0x3f737871, v19
	v_fmac_f32_e32 v5, 0x3f167918, v18
	;; [unrolled: 1-line block ×5, first 2 shown]
	v_sub_f32_e32 v8, v21, v23
	ds_write2_b64 v25, v[4:5], v[0:1] offset0:30 offset1:45
	v_add_f32_e32 v0, v15, v20
	v_add_f32_e32 v1, v13, v22
	v_sub_f32_e32 v4, v20, v22
	v_fma_f32 v0, -0.5, v0, v2
	v_fma_f32 v2, -0.5, v1, v2
	v_sub_f32_e32 v1, v15, v13
	v_add_f32_e32 v5, v1, v4
	v_add_f32_e32 v1, v14, v21
	;; [unrolled: 1-line block ×3, first 2 shown]
	v_fma_f32 v1, -0.5, v1, v3
	v_fmac_f32_e32 v3, -0.5, v4
	v_sub_f32_e32 v4, v14, v12
	v_add_f32_e32 v8, v4, v8
	v_fmamk_f32 v4, v9, 0x3f737871, v2
	v_fmac_f32_e32 v2, 0xbf737871, v9
	v_fmac_f32_e32 v4, 0xbf167918, v10
	;; [unrolled: 1-line block ×5, first 2 shown]
	v_fmamk_f32 v5, v11, 0xbf737871, v3
	v_fmac_f32_e32 v3, 0x3f737871, v11
	v_fmac_f32_e32 v5, 0x3f167918, v16
	;; [unrolled: 1-line block ×5, first 2 shown]
	s_waitcnt vmcnt(0)
	ds_write2_b64 v17, v[4:5], v[2:3] offset0:30 offset1:45
	v_sub_f32_e32 v4, v13, v15
	v_sub_f32_e32 v5, v22, v20
	v_add_f32_e32 v2, v6, v15
	v_add_f32_e32 v3, v7, v14
	v_sub_f32_e32 v6, v12, v14
	v_sub_f32_e32 v7, v23, v21
	v_add_f32_e32 v8, v4, v5
	v_fmamk_f32 v4, v10, 0xbf737871, v0
	v_fmamk_f32 v5, v16, 0x3f737871, v1
	v_fmac_f32_e32 v0, 0x3f737871, v10
	v_fmac_f32_e32 v1, 0xbf737871, v16
	v_add_f32_e32 v2, v2, v20
	v_add_f32_e32 v3, v3, v21
	;; [unrolled: 1-line block ×3, first 2 shown]
	v_fmac_f32_e32 v4, 0xbf167918, v9
	v_fmac_f32_e32 v5, 0x3f167918, v11
	;; [unrolled: 1-line block ×4, first 2 shown]
	v_add_f32_e32 v2, v2, v22
	v_add_f32_e32 v3, v3, v23
	v_fmac_f32_e32 v4, 0x3e9e377a, v8
	v_fmac_f32_e32 v5, 0x3e9e377a, v6
	;; [unrolled: 1-line block ×4, first 2 shown]
	ds_write2_b64 v17, v[2:3], v[4:5] offset1:15
	ds_write_b64 v17, v[0:1] offset:480
	s_waitcnt lgkmcnt(0)
	s_barrier
	buffer_gl0_inv
	ds_read2_b64 v[0:3], v127 offset0:44 offset1:169
	s_clause 0x1
	buffer_load_dword v4, off, s[20:23], 0 offset:524
	buffer_load_dword v5, off, s[20:23], 0 offset:528
	s_waitcnt vmcnt(0) lgkmcnt(0)
	v_mul_f32_e32 v40, v5, v1
	v_fmac_f32_e32 v40, v4, v0
	v_mul_f32_e32 v0, v5, v0
	v_fma_f32 v41, v4, v1, -v0
	s_clause 0x1
	buffer_load_dword v0, off, s[20:23], 0 offset:516
	buffer_load_dword v1, off, s[20:23], 0 offset:520
	s_waitcnt vmcnt(0)
	v_mul_f32_e32 v10, v1, v3
	v_mov_b32_e32 v5, v1
	v_mov_b32_e32 v4, v0
	v_fmac_f32_e32 v10, v0, v2
	v_mul_f32_e32 v0, v5, v2
	v_fma_f32 v11, v4, v3, -v0
	ds_read2_b64 v[0:3], v38 offset0:50 offset1:175
	s_clause 0x1
	buffer_load_dword v4, off, s[20:23], 0 offset:508
	buffer_load_dword v5, off, s[20:23], 0 offset:512
	s_waitcnt lgkmcnt(0)
	v_mul_f32_e32 v15, v111, v1
	v_fmac_f32_e32 v15, v110, v0
	v_mul_f32_e32 v0, v111, v0
	v_fma_f32 v14, v110, v1, -v0
	s_waitcnt vmcnt(0)
	v_mul_f32_e32 v89, v5, v3
	v_fmac_f32_e32 v89, v4, v2
	v_mul_f32_e32 v2, v5, v2
	v_fma_f32 v88, v4, v3, -v2
	ds_read2_b64 v[0:3], v85 offset0:62 offset1:187
	s_waitcnt lgkmcnt(0)
	v_mul_f32_e32 v13, v109, v3
	v_mul_f32_e32 v49, v200, v1
	v_fmac_f32_e32 v13, v108, v2
	v_mul_f32_e32 v2, v109, v2
	v_fmac_f32_e32 v49, v199, v0
	v_mul_f32_e32 v0, v200, v0
	v_fma_f32 v12, v108, v3, -v2
	v_fma_f32 v48, v199, v1, -v0
	ds_read2_b64 v[0:3], v83 offset0:56 offset1:181
	s_waitcnt lgkmcnt(0)
	v_mul_f32_e32 v84, v202, v3
	v_mul_f32_e32 v85, v228, v1
	v_fmac_f32_e32 v84, v201, v2
	v_mul_f32_e32 v2, v202, v2
	v_fmac_f32_e32 v85, v227, v0
	v_mul_f32_e32 v0, v228, v0
	v_fma_f32 v51, v201, v3, -v2
	;; [unrolled: 10-line block ×5, first 2 shown]
	v_fma_f32 v70, v239, v1, -v0
	ds_read2_b64 v[0:3], v224 offset0:86 offset1:211
	v_sub_f32_e32 v28, v70, v79
	s_waitcnt lgkmcnt(0)
	v_mul_f32_e32 v67, v238, v3
	v_mul_f32_e32 v43, v216, v1
	v_fmac_f32_e32 v67, v237, v2
	v_mul_f32_e32 v2, v238, v2
	v_fmac_f32_e32 v43, v215, v0
	v_mul_f32_e32 v0, v216, v0
	v_fma_f32 v66, v237, v3, -v2
	v_fma_f32 v42, v215, v1, -v0
	ds_read2_b64 v[0:3], v194 offset0:98 offset1:223
	v_sub_f32_e32 v83, v66, v77
	s_waitcnt lgkmcnt(0)
	v_mul_f32_e32 v39, v214, v3
	v_mul_f32_e32 v64, v242, v1
	v_fmac_f32_e32 v39, v213, v2
	v_mul_f32_e32 v2, v214, v2
	v_fmac_f32_e32 v64, v241, v0
	v_mul_f32_e32 v0, v242, v0
	v_fma_f32 v36, v213, v3, -v2
	v_fma_f32 v60, v241, v1, -v0
	ds_read2_b64 v[0:3], v223 offset0:92 offset1:217
	s_clause 0x3
	buffer_load_dword v4, off, s[20:23], 0 offset:480
	buffer_load_dword v5, off, s[20:23], 0 offset:484
	;; [unrolled: 1-line block ×4, first 2 shown]
	s_waitcnt lgkmcnt(0)
	v_mul_f32_e32 v65, v244, v3
	v_fmac_f32_e32 v65, v243, v2
	v_mul_f32_e32 v2, v244, v2
	v_fma_f32 v62, v243, v3, -v2
	s_waitcnt vmcnt(0)
	v_mul_f32_e32 v37, v7, v1
	v_fmac_f32_e32 v37, v6, v0
	v_mul_f32_e32 v0, v7, v0
	v_sub_f32_e32 v99, v37, v71
	v_fma_f32 v81, v6, v1, -v0
	ds_read2_b64 v[0:3], v123 offset0:104 offset1:229
	v_add_f32_e32 v9, v81, v70
	v_sub_f32_e32 v96, v81, v70
	s_waitcnt lgkmcnt(0)
	v_mul_f32_e32 v80, v5, v3
	v_mul_f32_e32 v26, v232, v1
	v_fmac_f32_e32 v80, v4, v2
	v_mul_f32_e32 v2, v5, v2
	v_fmac_f32_e32 v26, v231, v0
	v_mul_f32_e32 v0, v232, v0
	v_fma_f32 v63, v4, v3, -v2
	v_fma_f32 v27, v231, v1, -v0
	ds_read2_b64 v[0:3], v87 offset0:116 offset1:241
	v_sub_f32_e32 v87, v80, v89
	v_sub_f32_e32 v90, v63, v88
	s_waitcnt lgkmcnt(0)
	v_mul_f32_e32 v24, v230, v3
	v_mul_f32_e32 v61, v250, v1
	v_fmac_f32_e32 v24, v229, v2
	v_mul_f32_e32 v2, v230, v2
	v_fmac_f32_e32 v61, v249, v0
	v_mul_f32_e32 v0, v250, v0
	v_fma_f32 v25, v229, v3, -v2
	v_fma_f32 v52, v249, v1, -v0
	ds_read2_b64 v[0:3], v82 offset0:110 offset1:235
	s_clause 0x3
	buffer_load_dword v4, off, s[20:23], 0 offset:552
	buffer_load_dword v5, off, s[20:23], 0 offset:556
	;; [unrolled: 1-line block ×4, first 2 shown]
	v_sub_f32_e32 v82, v67, v78
	s_waitcnt lgkmcnt(0)
	v_mul_f32_e32 v53, v252, v3
	v_fmac_f32_e32 v53, v251, v2
	v_mul_f32_e32 v2, v252, v2
	v_sub_f32_e32 v46, v53, v84
	v_fma_f32 v54, v251, v3, -v2
	v_sub_f32_e32 v35, v54, v51
	s_waitcnt vmcnt(0)
	v_mul_f32_e32 v38, v7, v1
	v_fmac_f32_e32 v38, v6, v0
	v_mul_f32_e32 v0, v7, v0
	v_add_f32_e32 v7, v37, v71
	v_sub_f32_e32 v100, v38, v85
	v_fma_f32 v55, v6, v1, -v0
	ds_read2_b64 v[0:3], v86 offset0:122 offset1:247
	v_sub_f32_e32 v97, v55, v79
	s_waitcnt lgkmcnt(0)
	v_mul_f32_e32 v18, v5, v3
	v_fmac_f32_e32 v18, v4, v2
	v_mul_f32_e32 v2, v5, v2
	v_fma_f32 v17, v4, v3, -v2
	v_sub_f32_e32 v2, v38, v37
	v_sub_f32_e32 v3, v85, v71
	v_add_f32_e32 v8, v17, v63
	v_add_f32_e32 v16, v2, v3
	v_sub_f32_e32 v2, v55, v81
	v_sub_f32_e32 v3, v79, v70
	v_add_f32_e32 v8, v8, v66
	v_add_f32_e32 v19, v2, v3
	;; [unrolled: 4-line block ×4, first 2 shown]
	v_add_f32_e32 v2, v67, v78
	v_fma_f32 v73, -0.5, v2, v18
	v_add_f32_e32 v2, v66, v77
	v_fmamk_f32 v3, v90, 0xbf737871, v73
	v_fma_f32 v74, -0.5, v2, v17
	v_fmac_f32_e32 v73, 0x3f737871, v90
	v_fmac_f32_e32 v3, 0xbf167918, v83
	v_fmamk_f32 v2, v87, 0x3f737871, v74
	v_fmac_f32_e32 v74, 0xbf737871, v87
	v_fmac_f32_e32 v73, 0x3f167918, v83
	;; [unrolled: 1-line block ×8, first 2 shown]
	v_mul_f32_e32 v86, 0xbf167918, v2
	v_mul_f32_e32 v91, 0x3f4f1bbd, v2
	v_fmac_f32_e32 v86, 0x3f4f1bbd, v3
	v_fmac_f32_e32 v91, 0x3f167918, v3
	ds_read2_b64 v[2:5], v192 offset1:125
	s_waitcnt lgkmcnt(0)
	s_barrier
	buffer_gl0_inv
	s_clause 0x1
	buffer_load_dword v33, off, s[20:23], 0 offset:420
	buffer_load_dword v59, off, s[20:23], 0 offset:440
	v_fma_f32 v93, -0.5, v9, v3
	v_add_f32_e32 v6, v2, v38
	v_fma_f32 v92, -0.5, v7, v2
	v_add_f32_e32 v7, v18, v80
	v_fmamk_f32 v95, v100, 0x3f737871, v93
	v_fmac_f32_e32 v93, 0xbf737871, v100
	v_add_f32_e32 v6, v6, v37
	v_fmamk_f32 v94, v97, 0xbf737871, v92
	v_add_f32_e32 v7, v7, v67
	v_fmac_f32_e32 v95, 0x3f167918, v99
	v_fmac_f32_e32 v93, 0xbf167918, v99
	v_add_f32_e32 v6, v6, v71
	v_fmac_f32_e32 v94, 0xbf167918, v96
	v_add_f32_e32 v7, v7, v78
	v_fmac_f32_e32 v95, 0x3e9e377a, v19
	v_fmac_f32_e32 v93, 0x3e9e377a, v19
	buffer_load_dword v19, off, s[20:23], 0 offset:332 ; 4-byte Folded Reload
	v_add_f32_e32 v98, v6, v85
	v_add_f32_e32 v6, v3, v55
	v_add_f32_e32 v102, v7, v89
	v_fmac_f32_e32 v94, 0x3e9e377a, v16
	v_add_f32_e32 v9, v95, v91
	v_fmac_f32_e32 v92, 0x3f737871, v97
	v_add_f32_e32 v6, v6, v81
	v_add_f32_e32 v8, v94, v86
	v_fmac_f32_e32 v92, 0x3f167918, v96
	v_add_f32_e32 v6, v6, v70
	v_fmac_f32_e32 v92, 0x3e9e377a, v16
	v_add_f32_e32 v101, v6, v79
	v_add_f32_e32 v6, v98, v102
	v_mul_f32_e32 v16, 0xbf167918, v74
	v_add_f32_e32 v7, v101, v103
	v_fmac_f32_e32 v16, 0xbf4f1bbd, v73
	s_waitcnt vmcnt(2)
	ds_write2_b64 v33, v[6:7], v[8:9] offset1:75
	v_sub_f32_e32 v6, v37, v38
	v_sub_f32_e32 v7, v71, v85
	v_add_f32_e32 v8, v38, v85
	v_add_f32_e32 v9, v55, v79
	v_sub_f32_e32 v38, v62, v68
	v_add_f32_e32 v6, v6, v7
	v_sub_f32_e32 v7, v81, v55
	v_fma_f32 v8, -0.5, v8, v2
	v_fma_f32 v9, -0.5, v9, v3
	v_add_f32_e32 v3, v63, v88
	v_sub_f32_e32 v55, v65, v69
	v_add_f32_e32 v2, v7, v28
	v_fmamk_f32 v29, v96, 0x3f737871, v8
	v_fmac_f32_e32 v8, 0xbf737871, v96
	v_add_f32_e32 v7, v80, v89
	v_fmamk_f32 v30, v99, 0xbf737871, v9
	v_fmac_f32_e32 v9, 0x3f737871, v99
	v_fmac_f32_e32 v29, 0xbf167918, v97
	;; [unrolled: 1-line block ×3, first 2 shown]
	v_fmac_f32_e32 v18, -0.5, v7
	v_sub_f32_e32 v28, v78, v89
	v_fmac_f32_e32 v30, 0x3f167918, v100
	v_fmac_f32_e32 v29, 0x3e9e377a, v6
	;; [unrolled: 1-line block ×3, first 2 shown]
	v_sub_f32_e32 v6, v67, v80
	v_fmac_f32_e32 v9, 0xbf167918, v100
	v_fmamk_f32 v7, v83, 0x3f737871, v18
	v_fmac_f32_e32 v18, 0xbf737871, v83
	v_fmac_f32_e32 v30, 0x3e9e377a, v2
	v_fmac_f32_e32 v17, -0.5, v3
	v_fmac_f32_e32 v9, 0x3e9e377a, v2
	v_add_f32_e32 v2, v6, v28
	v_sub_f32_e32 v3, v66, v63
	v_sub_f32_e32 v6, v77, v88
	v_fmac_f32_e32 v7, 0xbf167918, v90
	v_fmac_f32_e32 v18, 0x3f167918, v90
	;; [unrolled: 1-line block ×4, first 2 shown]
	v_add_f32_e32 v2, v3, v6
	v_fmamk_f32 v3, v82, 0xbf737871, v17
	v_fmac_f32_e32 v17, 0x3f737871, v82
	v_fmac_f32_e32 v3, 0x3f167918, v87
	;; [unrolled: 1-line block ×5, first 2 shown]
	v_mul_f32_e32 v28, 0xbf737871, v3
	v_mul_f32_e32 v31, 0x3e9e377a, v3
	;; [unrolled: 1-line block ×4, first 2 shown]
	v_fmac_f32_e32 v28, 0x3e9e377a, v7
	v_fmac_f32_e32 v31, 0x3f737871, v7
	;; [unrolled: 1-line block ×4, first 2 shown]
	v_mul_f32_e32 v18, 0xbf4f1bbd, v74
	v_add_f32_e32 v2, v29, v28
	v_add_f32_e32 v3, v30, v31
	;; [unrolled: 1-line block ×4, first 2 shown]
	v_fmac_f32_e32 v18, 0x3f167918, v73
	v_add_nc_u32_e32 v73, 0x4800, v192
	ds_write2_b64 v33, v[2:3], v[6:7] offset0:150 offset1:225
	v_sub_f32_e32 v2, v98, v102
	v_sub_f32_e32 v3, v101, v103
	v_add_f32_e32 v6, v92, v16
	v_add_f32_e32 v7, v93, v18
	s_waitcnt vmcnt(0)
	ds_write2_b64 v19, v[6:7], v[2:3] offset0:44 offset1:119
	buffer_load_dword v19, off, s[20:23], 0 offset:336 ; 4-byte Folded Reload
	v_sub_f32_e32 v2, v94, v86
	v_sub_f32_e32 v3, v95, v91
	;; [unrolled: 1-line block ×8, first 2 shown]
	s_waitcnt vmcnt(0)
	ds_write2_b64 v19, v[2:3], v[6:7] offset0:66 offset1:141
	v_sub_f32_e32 v2, v8, v32
	buffer_load_dword v8, off, s[20:23], 0 offset:340 ; 4-byte Folded Reload
	v_sub_f32_e32 v3, v9, v17
	v_sub_f32_e32 v6, v92, v16
	v_sub_f32_e32 v7, v93, v18
	s_waitcnt vmcnt(0)
	ds_write2_b64 v8, v[2:3], v[6:7] offset0:88 offset1:163
	v_sub_f32_e32 v2, v53, v65
	v_sub_f32_e32 v3, v84, v69
	v_add_f32_e32 v7, v62, v68
	v_add_f32_e32 v6, v52, v60
	;; [unrolled: 1-line block ×3, first 2 shown]
	v_sub_f32_e32 v2, v54, v62
	v_sub_f32_e32 v3, v51, v68
	v_fma_f32 v45, -0.5, v7, v5
	v_add_f32_e32 v6, v6, v50
	v_add_f32_e32 v9, v2, v3
	v_sub_f32_e32 v2, v64, v76
	v_sub_f32_e32 v3, v40, v49
	v_fmamk_f32 v47, v46, 0x3f737871, v45
	v_add_f32_e32 v6, v6, v48
	v_fmac_f32_e32 v45, 0xbf737871, v46
	v_add_f32_e32 v16, v2, v3
	v_sub_f32_e32 v2, v60, v50
	v_sub_f32_e32 v3, v41, v48
	v_fmac_f32_e32 v47, 0x3f167918, v55
	v_add_f32_e32 v58, v6, v41
	v_fmac_f32_e32 v45, 0xbf167918, v55
	v_add_f32_e32 v17, v2, v3
	v_add_f32_e32 v2, v76, v49
	v_fmac_f32_e32 v47, 0x3e9e377a, v9
	v_fmac_f32_e32 v45, 0x3e9e377a, v9
	v_fma_f32 v18, -0.5, v2, v61
	v_add_f32_e32 v2, v50, v48
	v_fmamk_f32 v3, v30, 0xbf737871, v18
	v_fmac_f32_e32 v18, 0x3f737871, v30
	v_fma_f32 v19, -0.5, v2, v52
	v_fmac_f32_e32 v3, 0xbf167918, v31
	v_fmac_f32_e32 v18, 0x3f167918, v31
	v_fmamk_f32 v2, v28, 0x3f737871, v19
	v_fmac_f32_e32 v19, 0xbf737871, v28
	v_fmac_f32_e32 v3, 0x3e9e377a, v16
	;; [unrolled: 1-line block ×3, first 2 shown]
	buffer_load_dword v16, off, s[20:23], 0 offset:344 ; 4-byte Folded Reload
	v_fmac_f32_e32 v2, 0x3f167918, v29
	v_fmac_f32_e32 v19, 0xbf167918, v29
	;; [unrolled: 1-line block ×4, first 2 shown]
	v_mul_f32_e32 v32, 0xbf167918, v2
	v_mul_f32_e32 v33, 0x3f4f1bbd, v2
	v_add_f32_e32 v2, v4, v53
	v_mul_f32_e32 v9, 0xbf4f1bbd, v19
	v_fmac_f32_e32 v32, 0x3f4f1bbd, v3
	v_fmac_f32_e32 v33, 0x3f167918, v3
	v_add_f32_e32 v2, v2, v65
	v_add_f32_e32 v3, v65, v69
	v_fmac_f32_e32 v9, 0x3f167918, v18
	v_add_f32_e32 v7, v47, v33
	v_add_f32_e32 v2, v2, v69
	v_fma_f32 v34, -0.5, v3, v4
	v_add_f32_e32 v3, v61, v64
	v_add_f32_e32 v44, v2, v84
	;; [unrolled: 1-line block ×3, first 2 shown]
	v_fmamk_f32 v37, v35, 0xbf737871, v34
	v_add_f32_e32 v3, v3, v76
	v_fmac_f32_e32 v34, 0x3f737871, v35
	v_add_f32_e32 v2, v2, v62
	v_fmac_f32_e32 v37, 0xbf167918, v38
	;; [unrolled: 2-line block ×5, first 2 shown]
	v_mul_f32_e32 v8, 0xbf167918, v19
	v_add_f32_e32 v56, v2, v51
	v_add_f32_e32 v6, v37, v32
	;; [unrolled: 1-line block ×3, first 2 shown]
	v_sub_f32_e32 v19, v21, v13
	v_fmac_f32_e32 v8, 0xbf4f1bbd, v18
	v_add_f32_e32 v3, v56, v58
	v_sub_f32_e32 v18, v39, v10
	ds_write2_b64 v59, v[2:3], v[6:7] offset1:75
	v_add_f32_e32 v6, v53, v84
	v_add_f32_e32 v7, v54, v51
	v_sub_f32_e32 v2, v65, v53
	v_sub_f32_e32 v3, v69, v84
	;; [unrolled: 1-line block ×3, first 2 shown]
	v_fma_f32 v4, -0.5, v6, v4
	v_fmac_f32_e32 v5, -0.5, v7
	v_add_f32_e32 v6, v64, v40
	v_add_f32_e32 v2, v2, v3
	v_sub_f32_e32 v3, v62, v54
	v_fmamk_f32 v53, v38, 0x3f737871, v4
	v_fmac_f32_e32 v4, 0xbf737871, v38
	v_sub_f32_e32 v7, v49, v40
	v_fmamk_f32 v40, v55, 0xbf737871, v5
	v_fmac_f32_e32 v5, 0x3f737871, v55
	v_fmac_f32_e32 v53, 0xbf167918, v35
	v_fmac_f32_e32 v4, 0x3f167918, v35
	v_fmac_f32_e32 v61, -0.5, v6
	v_fmac_f32_e32 v40, 0x3f167918, v46
	v_fmac_f32_e32 v5, 0xbf167918, v46
	;; [unrolled: 1-line block ×4, first 2 shown]
	v_add_f32_e32 v2, v3, v51
	v_sub_f32_e32 v3, v76, v64
	v_sub_f32_e32 v6, v48, v41
	;; [unrolled: 1-line block ×3, first 2 shown]
	v_fmac_f32_e32 v40, 0x3e9e377a, v2
	v_fmac_f32_e32 v5, 0x3e9e377a, v2
	v_add_f32_e32 v2, v3, v7
	v_add_f32_e32 v3, v60, v41
	v_fmamk_f32 v7, v31, 0x3f737871, v61
	v_fmac_f32_e32 v61, 0xbf737871, v31
	v_fmac_f32_e32 v52, -0.5, v3
	v_sub_f32_e32 v3, v50, v60
	v_fmac_f32_e32 v7, 0xbf167918, v30
	v_fmac_f32_e32 v61, 0x3f167918, v30
	;; [unrolled: 1-line block ×4, first 2 shown]
	v_add_f32_e32 v2, v3, v6
	v_fmamk_f32 v3, v29, 0xbf737871, v52
	v_fmac_f32_e32 v52, 0x3f737871, v29
	v_sub_f32_e32 v29, v20, v12
	v_fmac_f32_e32 v3, 0x3f167918, v28
	v_fmac_f32_e32 v52, 0xbf167918, v28
	v_sub_f32_e32 v28, v36, v11
	v_fmac_f32_e32 v3, 0x3e9e377a, v2
	v_fmac_f32_e32 v52, 0x3e9e377a, v2
	v_mul_f32_e32 v41, 0xbf737871, v3
	v_mul_f32_e32 v48, 0x3e9e377a, v3
	v_mul_f32_e32 v49, 0xbf737871, v52
	v_mul_f32_e32 v50, 0xbe9e377a, v52
	v_fmac_f32_e32 v41, 0x3e9e377a, v7
	v_fmac_f32_e32 v48, 0x3f737871, v7
	;; [unrolled: 1-line block ×4, first 2 shown]
	v_add_f32_e32 v2, v53, v41
	v_add_f32_e32 v3, v40, v48
	;; [unrolled: 1-line block ×4, first 2 shown]
	ds_write2_b64 v59, v[2:3], v[6:7] offset0:150 offset1:225
	v_sub_f32_e32 v2, v44, v57
	v_sub_f32_e32 v3, v56, v58
	v_add_f32_e32 v6, v34, v8
	v_add_f32_e32 v7, v45, v9
	v_sub_f32_e32 v44, v43, v23
	s_waitcnt vmcnt(0)
	ds_write2_b64 v16, v[6:7], v[2:3] offset0:44 offset1:119
	buffer_load_dword v16, off, s[20:23], 0 offset:348 ; 4-byte Folded Reload
	v_sub_f32_e32 v2, v37, v32
	v_sub_f32_e32 v3, v47, v33
	;; [unrolled: 1-line block ×6, first 2 shown]
	s_waitcnt vmcnt(0)
	ds_write2_b64 v16, v[2:3], v[6:7] offset0:66 offset1:141
	buffer_load_dword v6, off, s[20:23], 0 offset:352 ; 4-byte Folded Reload
	v_sub_f32_e32 v3, v5, v50
	v_sub_f32_e32 v2, v4, v49
	;; [unrolled: 1-line block ×4, first 2 shown]
	s_waitcnt vmcnt(0)
	ds_write2_b64 v6, v[2:3], v[4:5] offset0:88 offset1:163
	v_sub_f32_e32 v2, v26, v43
	v_sub_f32_e32 v3, v15, v23
	v_add_f32_e32 v5, v42, v22
	v_add_f32_e32 v4, v25, v36
	;; [unrolled: 1-line block ×3, first 2 shown]
	v_sub_f32_e32 v2, v27, v42
	v_sub_f32_e32 v3, v14, v22
	v_fma_f32 v38, -0.5, v5, v1
	v_add_f32_e32 v4, v4, v20
	v_add_f32_e32 v7, v2, v3
	v_sub_f32_e32 v2, v39, v21
	v_sub_f32_e32 v3, v10, v13
	v_fmamk_f32 v41, v40, 0x3f737871, v38
	v_add_f32_e32 v4, v4, v12
	v_fmac_f32_e32 v38, 0xbf737871, v40
	v_add_f32_e32 v8, v2, v3
	v_sub_f32_e32 v2, v36, v20
	v_sub_f32_e32 v3, v11, v12
	v_fmac_f32_e32 v41, 0x3f167918, v44
	v_add_f32_e32 v47, v4, v11
	v_fmac_f32_e32 v38, 0xbf167918, v44
	v_add_f32_e32 v9, v2, v3
	v_add_f32_e32 v2, v21, v13
	v_fmac_f32_e32 v41, 0x3e9e377a, v7
	v_fmac_f32_e32 v38, 0x3e9e377a, v7
	v_fma_f32 v16, -0.5, v2, v24
	v_add_f32_e32 v2, v20, v12
	v_fmamk_f32 v3, v28, 0xbf737871, v16
	v_fmac_f32_e32 v16, 0x3f737871, v28
	v_fma_f32 v17, -0.5, v2, v25
	v_fmac_f32_e32 v3, 0xbf167918, v29
	v_fmac_f32_e32 v16, 0x3f167918, v29
	v_fmamk_f32 v2, v18, 0x3f737871, v17
	v_fmac_f32_e32 v17, 0xbf737871, v18
	v_fmac_f32_e32 v3, 0x3e9e377a, v8
	;; [unrolled: 1-line block ×3, first 2 shown]
	buffer_load_dword v8, off, s[20:23], 0 offset:356 ; 4-byte Folded Reload
	v_fmac_f32_e32 v2, 0x3f167918, v19
	v_fmac_f32_e32 v17, 0xbf167918, v19
	;; [unrolled: 1-line block ×4, first 2 shown]
	v_mul_f32_e32 v30, 0xbf167918, v2
	v_mul_f32_e32 v31, 0x3f4f1bbd, v2
	v_add_f32_e32 v2, v0, v26
	v_mul_f32_e32 v7, 0xbf4f1bbd, v17
	v_fmac_f32_e32 v30, 0x3f4f1bbd, v3
	v_fmac_f32_e32 v31, 0x3f167918, v3
	v_add_f32_e32 v2, v2, v43
	v_add_f32_e32 v3, v43, v23
	v_fmac_f32_e32 v7, 0x3f167918, v16
	v_add_f32_e32 v5, v41, v31
	v_add_f32_e32 v2, v2, v23
	v_fma_f32 v32, -0.5, v3, v0
	v_add_f32_e32 v3, v24, v39
	v_add_f32_e32 v37, v2, v15
	v_add_f32_e32 v2, v1, v27
	v_fmamk_f32 v34, v33, 0xbf737871, v32
	v_add_f32_e32 v3, v3, v21
	v_fmac_f32_e32 v32, 0x3f737871, v33
	v_add_f32_e32 v2, v2, v42
	v_fmac_f32_e32 v34, 0xbf167918, v35
	;; [unrolled: 2-line block ×5, first 2 shown]
	v_mul_f32_e32 v6, 0xbf167918, v17
	v_add_f32_e32 v45, v2, v14
	v_add_f32_e32 v4, v34, v30
	;; [unrolled: 1-line block ×3, first 2 shown]
	v_fmac_f32_e32 v6, 0xbf4f1bbd, v16
	v_add_f32_e32 v3, v45, v47
	ds_write2_b64 v255, v[2:3], v[4:5] offset1:75
	v_add_f32_e32 v4, v26, v15
	v_add_f32_e32 v5, v27, v14
	v_sub_f32_e32 v2, v43, v26
	v_sub_f32_e32 v3, v23, v15
	;; [unrolled: 1-line block ×3, first 2 shown]
	v_fma_f32 v0, -0.5, v4, v0
	v_fmac_f32_e32 v1, -0.5, v5
	v_add_f32_e32 v4, v39, v10
	v_add_f32_e32 v2, v2, v3
	v_sub_f32_e32 v3, v42, v27
	v_fmamk_f32 v15, v35, 0x3f737871, v0
	v_fmac_f32_e32 v0, 0xbf737871, v35
	v_sub_f32_e32 v5, v13, v10
	v_fmamk_f32 v10, v44, 0xbf737871, v1
	v_fmac_f32_e32 v1, 0x3f737871, v44
	v_fmac_f32_e32 v15, 0xbf167918, v33
	;; [unrolled: 1-line block ×3, first 2 shown]
	v_fmac_f32_e32 v24, -0.5, v4
	v_fmac_f32_e32 v10, 0x3f167918, v40
	v_fmac_f32_e32 v1, 0xbf167918, v40
	;; [unrolled: 1-line block ×4, first 2 shown]
	v_add_f32_e32 v2, v3, v14
	v_sub_f32_e32 v3, v21, v39
	v_sub_f32_e32 v4, v12, v11
	v_fmac_f32_e32 v10, 0x3e9e377a, v2
	v_fmac_f32_e32 v1, 0x3e9e377a, v2
	v_add_f32_e32 v2, v3, v5
	v_add_f32_e32 v3, v36, v11
	v_fmamk_f32 v5, v29, 0x3f737871, v24
	v_fmac_f32_e32 v24, 0xbf737871, v29
	v_fmac_f32_e32 v25, -0.5, v3
	v_sub_f32_e32 v3, v20, v36
	v_fmac_f32_e32 v5, 0xbf167918, v28
	v_fmac_f32_e32 v24, 0x3f167918, v28
	;; [unrolled: 1-line block ×4, first 2 shown]
	v_add_f32_e32 v2, v3, v4
	v_fmamk_f32 v3, v19, 0xbf737871, v25
	v_fmac_f32_e32 v25, 0x3f737871, v19
	v_fmac_f32_e32 v3, 0x3f167918, v18
	;; [unrolled: 1-line block ×5, first 2 shown]
	v_mul_f32_e32 v11, 0xbf737871, v3
	v_mul_f32_e32 v12, 0x3e9e377a, v3
	;; [unrolled: 1-line block ×4, first 2 shown]
	v_fmac_f32_e32 v11, 0x3e9e377a, v5
	v_fmac_f32_e32 v12, 0x3f737871, v5
	;; [unrolled: 1-line block ×4, first 2 shown]
	v_add_f32_e32 v2, v15, v11
	v_add_f32_e32 v3, v10, v12
	;; [unrolled: 1-line block ×4, first 2 shown]
	v_sub_f32_e32 v1, v1, v14
	v_sub_f32_e32 v0, v0, v13
	ds_write2_b64 v255, v[2:3], v[4:5] offset0:150 offset1:225
	v_sub_f32_e32 v2, v37, v46
	v_sub_f32_e32 v3, v45, v47
	v_add_f32_e32 v4, v32, v6
	v_add_f32_e32 v5, v38, v7
	s_waitcnt vmcnt(0)
	ds_write2_b64 v8, v[4:5], v[2:3] offset0:44 offset1:119
	buffer_load_dword v8, off, s[20:23], 0 offset:360 ; 4-byte Folded Reload
	v_sub_f32_e32 v2, v34, v30
	v_sub_f32_e32 v3, v41, v31
	;; [unrolled: 1-line block ×4, first 2 shown]
	s_waitcnt vmcnt(0)
	ds_write2_b64 v8, v[2:3], v[4:5] offset0:66 offset1:141
	buffer_load_dword v4, off, s[20:23], 0 offset:364 ; 4-byte Folded Reload
	v_sub_f32_e32 v2, v32, v6
	v_sub_f32_e32 v3, v38, v7
	s_waitcnt vmcnt(0)
	ds_write2_b64 v4, v[0:1], v[2:3] offset0:88 offset1:163
	s_waitcnt lgkmcnt(0)
	s_barrier
	buffer_gl0_inv
	ds_read2_b64 v[0:3], v104 offset0:110 offset1:235
	ds_read2_b64 v[4:7], v223 offset0:92 offset1:217
	s_clause 0x3
	buffer_load_dword v8, off, s[20:23], 0 offset:404
	buffer_load_dword v9, off, s[20:23], 0 offset:408
	;; [unrolled: 1-line block ×4, first 2 shown]
	s_waitcnt lgkmcnt(1)
	v_mul_f32_e32 v37, v246, v1
	s_waitcnt lgkmcnt(0)
	v_mul_f32_e32 v51, v248, v5
	v_fmac_f32_e32 v37, v245, v0
	v_mul_f32_e32 v0, v246, v0
	v_fmac_f32_e32 v51, v247, v4
	v_fma_f32 v38, v245, v1, -v0
	v_mul_f32_e32 v0, v248, v4
	v_fma_f32 v50, v247, v5, -v0
	s_waitcnt vmcnt(2)
	v_mul_f32_e32 v0, v9, v2
	v_mul_f32_e32 v36, v9, v3
	s_waitcnt vmcnt(0)
	v_mul_f32_e32 v40, v11, v7
	v_fma_f32 v39, v8, v3, -v0
	v_mul_f32_e32 v0, v11, v6
	v_fmac_f32_e32 v36, v8, v2
	v_fmac_f32_e32 v40, v10, v6
	v_fma_f32 v41, v10, v7, -v0
	ds_read2_b64 v[0:3], v122 offset0:74 offset1:199
	s_clause 0x3
	buffer_load_dword v6, off, s[20:23], 0 offset:388
	buffer_load_dword v7, off, s[20:23], 0 offset:392
	;; [unrolled: 1-line block ×4, first 2 shown]
	s_waitcnt vmcnt(2) lgkmcnt(0)
	v_mul_f32_e32 v53, v7, v1
	v_fmac_f32_e32 v53, v6, v0
	v_mul_f32_e32 v0, v7, v0
	v_sub_f32_e32 v61, v51, v53
	v_fma_f32 v52, v6, v1, -v0
	ds_read2_b64 v[4:7], v124 offset0:56 offset1:181
	v_sub_f32_e32 v58, v50, v52
	s_waitcnt vmcnt(0) lgkmcnt(0)
	v_mul_f32_e32 v55, v9, v5
	v_mul_f32_e32 v0, v9, v4
	v_fmac_f32_e32 v55, v8, v4
	v_fma_f32 v54, v8, v5, -v0
	s_clause 0x3
	buffer_load_dword v8, off, s[20:23], 0 offset:372
	buffer_load_dword v9, off, s[20:23], 0 offset:376
	;; [unrolled: 1-line block ×4, first 2 shown]
	v_sub_f32_e32 v60, v37, v55
	v_sub_f32_e32 v59, v38, v54
	s_waitcnt vmcnt(2)
	v_mul_f32_e32 v0, v9, v2
	v_mul_f32_e32 v43, v9, v3
	s_waitcnt vmcnt(0)
	v_mul_f32_e32 v47, v11, v7
	v_fma_f32 v46, v8, v3, -v0
	v_mul_f32_e32 v0, v11, v6
	v_fmac_f32_e32 v43, v8, v2
	v_fmac_f32_e32 v47, v10, v6
	v_fma_f32 v49, v10, v7, -v0
	ds_read2_b64 v[0:3], v123 offset0:104 offset1:229
	ds_read2_b64 v[4:7], v224 offset0:86 offset1:211
	s_waitcnt lgkmcnt(1)
	v_mul_f32_e32 v32, v165, v1
	v_mul_f32_e32 v24, v185, v3
	s_waitcnt lgkmcnt(0)
	v_mul_f32_e32 v34, v167, v5
	v_mul_f32_e32 v27, v187, v7
	v_fmac_f32_e32 v32, v164, v0
	v_mul_f32_e32 v0, v165, v0
	v_fmac_f32_e32 v24, v184, v2
	v_fmac_f32_e32 v34, v166, v4
	;; [unrolled: 1-line block ×3, first 2 shown]
	v_fma_f32 v33, v164, v1, -v0
	v_mul_f32_e32 v0, v167, v4
	v_fma_f32 v35, v166, v5, -v0
	v_mul_f32_e32 v0, v185, v2
	v_fma_f32 v25, v184, v3, -v0
	v_mul_f32_e32 v0, v187, v6
	v_fma_f32 v26, v186, v7, -v0
	ds_read2_b64 v[0:3], v209 offset0:68 offset1:193
	ds_read2_b64 v[4:7], v105 offset0:50 offset1:175
	s_waitcnt lgkmcnt(1)
	v_mul_f32_e32 v48, v161, v1
	v_mul_f32_e32 v28, v173, v3
	s_waitcnt lgkmcnt(0)
	v_mul_f32_e32 v42, v163, v5
	v_mul_f32_e32 v31, v175, v7
	v_fmac_f32_e32 v48, v160, v0
	v_mul_f32_e32 v0, v161, v0
	v_fmac_f32_e32 v28, v172, v2
	v_fmac_f32_e32 v42, v162, v4
	;; [unrolled: 1-line block ×3, first 2 shown]
	v_sub_f32_e32 v68, v34, v48
	v_fma_f32 v44, v160, v1, -v0
	v_mul_f32_e32 v0, v163, v4
	v_sub_f32_e32 v69, v32, v42
	v_sub_f32_e32 v66, v35, v44
	v_fma_f32 v45, v162, v5, -v0
	v_mul_f32_e32 v0, v173, v2
	v_sub_f32_e32 v67, v33, v45
	v_fma_f32 v29, v172, v3, -v0
	v_mul_f32_e32 v0, v175, v6
	v_fma_f32 v30, v174, v7, -v0
	ds_read2_b64 v[0:3], v194 offset0:98 offset1:223
	ds_read2_b64 v[4:7], v210 offset0:80 offset1:205
	s_waitcnt lgkmcnt(1)
	v_mul_f32_e32 v12, v189, v1
	v_mul_f32_e32 v8, v181, v3
	s_waitcnt lgkmcnt(0)
	v_mul_f32_e32 v13, v191, v5
	v_mul_f32_e32 v11, v183, v7
	v_fmac_f32_e32 v12, v188, v0
	v_mul_f32_e32 v0, v189, v0
	v_fmac_f32_e32 v8, v180, v2
	v_fmac_f32_e32 v13, v190, v4
	;; [unrolled: 1-line block ×3, first 2 shown]
	v_fma_f32 v14, v188, v1, -v0
	v_mul_f32_e32 v0, v191, v4
	v_fma_f32 v15, v190, v5, -v0
	v_mul_f32_e32 v0, v181, v2
	;; [unrolled: 2-line block ×3, first 2 shown]
	v_fma_f32 v10, v182, v7, -v0
	ds_read2_b64 v[0:3], v193 offset0:62 offset1:187
	ds_read2_b64 v[4:7], v127 offset0:44 offset1:169
	s_waitcnt lgkmcnt(1)
	v_mul_f32_e32 v18, v177, v1
	v_mul_f32_e32 v16, v169, v3
	s_waitcnt lgkmcnt(0)
	v_mul_f32_e32 v19, v179, v5
	v_mul_f32_e32 v20, v171, v7
	v_fmac_f32_e32 v18, v176, v0
	v_mul_f32_e32 v0, v177, v0
	v_fmac_f32_e32 v16, v168, v2
	v_fmac_f32_e32 v19, v178, v4
	;; [unrolled: 1-line block ×3, first 2 shown]
	v_fma_f32 v21, v176, v1, -v0
	v_mul_f32_e32 v0, v179, v4
	v_sub_f32_e32 v1, v55, v53
	v_add_f32_e32 v4, v51, v53
	v_fma_f32 v22, v178, v5, -v0
	v_mul_f32_e32 v0, v169, v2
	v_add_f32_e32 v5, v50, v52
	v_fma_f32 v17, v168, v3, -v0
	v_mul_f32_e32 v0, v171, v6
	v_sub_f32_e32 v6, v38, v50
	v_fma_f32 v23, v170, v7, -v0
	v_sub_f32_e32 v0, v37, v51
	v_sub_f32_e32 v7, v54, v52
	v_add_f32_e32 v56, v0, v1
	ds_read2_b64 v[0:3], v192 offset1:125
	v_add_f32_e32 v57, v6, v7
	s_waitcnt lgkmcnt(0)
	v_fma_f32 v4, -0.5, v4, v0
	v_fma_f32 v5, -0.5, v5, v1
	v_fmamk_f32 v6, v59, 0xbf737871, v4
	v_fmamk_f32 v7, v60, 0x3f737871, v5
	v_fmac_f32_e32 v4, 0x3f737871, v59
	v_fmac_f32_e32 v5, 0xbf737871, v60
	v_fmac_f32_e32 v6, 0xbf167918, v58
	v_fmac_f32_e32 v7, 0x3f167918, v61
	v_fmac_f32_e32 v4, 0x3f167918, v58
	v_fmac_f32_e32 v5, 0xbf167918, v61
	v_fmac_f32_e32 v6, 0x3e9e377a, v56
	v_fmac_f32_e32 v7, 0x3e9e377a, v57
	v_fmac_f32_e32 v4, 0x3e9e377a, v56
	v_fmac_f32_e32 v5, 0x3e9e377a, v57
	ds_write_b64 v192, v[6:7] offset:6000
	v_add_f32_e32 v6, v0, v37
	v_add_f32_e32 v7, v1, v38
	;; [unrolled: 1-line block ×4, first 2 shown]
	v_sub_f32_e32 v51, v51, v37
	v_add_f32_e32 v37, v37, v55
	v_sub_f32_e32 v50, v50, v38
	v_add_f32_e32 v38, v38, v54
	v_add_f32_e32 v6, v6, v53
	;; [unrolled: 1-line block ×3, first 2 shown]
	v_fma_f32 v0, -0.5, v37, v0
	v_sub_f32_e32 v53, v53, v55
	v_fma_f32 v1, -0.5, v38, v1
	v_sub_f32_e32 v52, v52, v54
	v_add_f32_e32 v6, v6, v55
	v_fmamk_f32 v37, v58, 0x3f737871, v0
	v_fmac_f32_e32 v0, 0xbf737871, v58
	v_fmamk_f32 v38, v61, 0xbf737871, v1
	v_fmac_f32_e32 v1, 0x3f737871, v61
	v_add_f32_e32 v7, v7, v54
	v_add_f32_e32 v54, v51, v53
	;; [unrolled: 1-line block ×3, first 2 shown]
	v_fmac_f32_e32 v0, 0x3f167918, v59
	v_fmac_f32_e32 v1, 0xbf167918, v60
	ds_read2_b64 v[50:53], v195 offset0:122 offset1:247
	ds_read2_b64 v[62:65], v196 offset0:116 offset1:241
	v_fmac_f32_e32 v37, 0xbf167918, v59
	v_fmac_f32_e32 v38, 0x3f167918, v60
	v_fmac_f32_e32 v0, 0x3e9e377a, v54
	v_fmac_f32_e32 v1, 0x3e9e377a, v55
	ds_write_b64 v192, v[4:5] offset:24000
	v_fmac_f32_e32 v37, 0x3e9e377a, v54
	v_fmac_f32_e32 v38, 0x3e9e377a, v55
	v_sub_f32_e32 v4, v43, v47
	ds_write_b64 v192, v[0:1] offset:18000
	v_add_f32_e32 v0, v2, v36
	v_add_f32_e32 v1, v3, v39
	ds_write_b64 v192, v[37:38] offset:12000
	v_sub_f32_e32 v5, v46, v49
	v_sub_f32_e32 v58, v41, v46
	v_add_f32_e32 v0, v0, v40
	v_add_f32_e32 v1, v1, v41
	v_sub_f32_e32 v60, v40, v43
	v_sub_f32_e32 v59, v39, v49
	;; [unrolled: 1-line block ×3, first 2 shown]
	v_add_f32_e32 v0, v0, v43
	v_add_f32_e32 v1, v1, v46
	;; [unrolled: 1-line block ×4, first 2 shown]
	ds_write2_b64 v192, v[6:7], v[0:1] offset1:125
	v_add_f32_e32 v0, v40, v43
	v_add_f32_e32 v1, v36, v47
	v_sub_f32_e32 v6, v35, v33
	v_sub_f32_e32 v7, v44, v45
	v_fma_f32 v0, -0.5, v0, v2
	v_fma_f32 v2, -0.5, v1, v2
	v_sub_f32_e32 v1, v40, v36
	v_add_f32_e32 v57, v6, v7
	v_fmamk_f32 v6, v58, 0x3f737871, v2
	v_add_f32_e32 v54, v1, v4
	v_add_f32_e32 v1, v41, v46
	;; [unrolled: 1-line block ×3, first 2 shown]
	v_fmac_f32_e32 v2, 0xbf737871, v58
	v_fmac_f32_e32 v6, 0xbf167918, v59
	v_fma_f32 v1, -0.5, v1, v3
	v_fmac_f32_e32 v3, -0.5, v4
	v_sub_f32_e32 v4, v41, v39
	v_fmac_f32_e32 v2, 0x3f167918, v59
	v_fmac_f32_e32 v6, 0x3e9e377a, v54
	v_fmamk_f32 v7, v60, 0xbf737871, v3
	v_add_f32_e32 v55, v4, v5
	v_sub_f32_e32 v4, v34, v32
	v_sub_f32_e32 v5, v48, v42
	v_fmac_f32_e32 v3, 0x3f737871, v60
	v_fmac_f32_e32 v2, 0x3e9e377a, v54
	;; [unrolled: 1-line block ×3, first 2 shown]
	v_add_f32_e32 v56, v4, v5
	v_add_f32_e32 v4, v32, v42
	;; [unrolled: 1-line block ×3, first 2 shown]
	v_fmac_f32_e32 v3, 0xbf167918, v61
	v_fmac_f32_e32 v7, 0x3e9e377a, v55
	s_waitcnt lgkmcnt(5)
	v_fma_f32 v4, -0.5, v4, v50
	v_fma_f32 v5, -0.5, v5, v51
	v_fmac_f32_e32 v3, 0x3e9e377a, v55
	v_fmamk_f32 v37, v66, 0x3f737871, v4
	v_fmac_f32_e32 v4, 0xbf737871, v66
	v_fmamk_f32 v38, v68, 0xbf737871, v5
	v_fmac_f32_e32 v5, 0x3f737871, v68
	v_fmac_f32_e32 v37, 0xbf167918, v67
	;; [unrolled: 1-line block ×9, first 2 shown]
	ds_write2_b64 v73, v[2:3], v[4:5] offset0:71 offset1:196
	v_sub_f32_e32 v2, v36, v40
	v_sub_f32_e32 v3, v47, v43
	;; [unrolled: 1-line block ×4, first 2 shown]
	v_add_nc_u32_e32 v47, 0x1800, v192
	v_add_f32_e32 v36, v2, v3
	v_sub_f32_e32 v2, v32, v34
	v_sub_f32_e32 v3, v42, v48
	v_add_f32_e32 v41, v4, v5
	v_sub_f32_e32 v4, v33, v35
	v_sub_f32_e32 v5, v45, v44
	v_add_f32_e32 v43, v2, v3
	v_add_f32_e32 v2, v34, v48
	;; [unrolled: 1-line block ×4, first 2 shown]
	v_fmamk_f32 v4, v59, 0xbf737871, v0
	v_fmamk_f32 v5, v61, 0x3f737871, v1
	v_fma_f32 v2, -0.5, v2, v50
	v_fma_f32 v3, -0.5, v3, v51
	v_fmac_f32_e32 v0, 0x3f737871, v59
	v_fmac_f32_e32 v4, 0xbf167918, v58
	;; [unrolled: 1-line block ×3, first 2 shown]
	v_fmamk_f32 v39, v67, 0xbf737871, v2
	v_fmamk_f32 v40, v69, 0x3f737871, v3
	v_fmac_f32_e32 v1, 0xbf737871, v61
	v_fmac_f32_e32 v4, 0x3e9e377a, v36
	;; [unrolled: 1-line block ×14, first 2 shown]
	ds_write2_b64 v47, v[4:5], v[39:40] offset0:107 offset1:232
	v_add_nc_u32_e32 v4, 0x3000, v192
	v_add_f32_e32 v5, v51, v33
	v_fmac_f32_e32 v1, 0x3e9e377a, v41
	v_fmac_f32_e32 v2, 0x3e9e377a, v43
	;; [unrolled: 1-line block ×3, first 2 shown]
	ds_write2_b64 v4, v[6:7], v[37:38] offset0:89 offset1:214
	v_add_f32_e32 v4, v50, v32
	v_add_f32_e32 v6, v52, v24
	;; [unrolled: 1-line block ×9, first 2 shown]
	v_add_nc_u32_e32 v34, 0x6000, v192
	v_add_f32_e32 v4, v4, v48
	v_add_f32_e32 v6, v6, v28
	;; [unrolled: 1-line block ×8, first 2 shown]
	ds_write2_b64 v34, v[0:1], v[2:3] offset0:53 offset1:178
	ds_write2_b64 v195, v[4:5], v[6:7] offset0:122 offset1:247
	v_add_f32_e32 v1, v26, v29
	v_add_f32_e32 v2, v25, v30
	v_fma_f32 v0, -0.5, v32, v52
	v_sub_f32_e32 v32, v27, v28
	v_fma_f32 v52, -0.5, v33, v52
	v_fma_f32 v1, -0.5, v1, v53
	v_fmac_f32_e32 v53, -0.5, v2
	v_sub_f32_e32 v7, v26, v25
	v_sub_f32_e32 v33, v29, v30
	;; [unrolled: 1-line block ×4, first 2 shown]
	v_fmamk_f32 v3, v32, 0xbf737871, v53
	v_fmac_f32_e32 v53, 0x3f737871, v32
	v_sub_f32_e32 v5, v28, v31
	v_sub_f32_e32 v6, v26, v29
	;; [unrolled: 1-line block ×3, first 2 shown]
	v_add_f32_e32 v7, v7, v33
	v_fmac_f32_e32 v53, 0xbf167918, v35
	v_fmac_f32_e32 v3, 0x3f167918, v35
	v_sub_f32_e32 v24, v24, v27
	v_sub_f32_e32 v27, v31, v28
	v_fmamk_f32 v2, v6, 0x3f737871, v52
	v_fmac_f32_e32 v52, 0xbf737871, v6
	v_add_f32_e32 v36, v4, v5
	v_fmac_f32_e32 v53, 0x3e9e377a, v7
	v_fmamk_f32 v4, v34, 0xbf737871, v0
	v_fmac_f32_e32 v0, 0x3f737871, v34
	v_add_f32_e32 v27, v24, v27
	v_fmac_f32_e32 v3, 0x3e9e377a, v7
	v_add_f32_e32 v7, v13, v18
	v_add_f32_e32 v24, v15, v21
	v_fmac_f32_e32 v52, 0x3f167918, v34
	v_fmac_f32_e32 v2, 0xbf167918, v34
	v_sub_f32_e32 v25, v25, v26
	v_sub_f32_e32 v26, v30, v29
	v_fmac_f32_e32 v0, 0x3f167918, v6
	v_fmac_f32_e32 v4, 0xbf167918, v6
	s_waitcnt lgkmcnt(9)
	v_fma_f32 v6, -0.5, v7, v62
	v_fma_f32 v7, -0.5, v24, v63
	v_sub_f32_e32 v30, v14, v22
	v_sub_f32_e32 v31, v12, v19
	v_fmamk_f32 v5, v35, 0x3f737871, v1
	v_fmac_f32_e32 v1, 0xbf737871, v35
	v_fmac_f32_e32 v52, 0x3e9e377a, v36
	;; [unrolled: 1-line block ×3, first 2 shown]
	v_add_f32_e32 v26, v25, v26
	v_sub_f32_e32 v28, v12, v13
	v_sub_f32_e32 v29, v19, v18
	;; [unrolled: 1-line block ×5, first 2 shown]
	v_fmamk_f32 v24, v30, 0xbf737871, v6
	v_fmamk_f32 v25, v31, 0x3f737871, v7
	v_sub_f32_e32 v36, v13, v18
	v_fmac_f32_e32 v1, 0xbf167918, v32
	v_fmac_f32_e32 v5, 0x3f167918, v32
	v_add_f32_e32 v28, v28, v29
	v_add_f32_e32 v29, v33, v34
	v_fmac_f32_e32 v24, 0xbf167918, v35
	v_fmac_f32_e32 v25, 0x3f167918, v36
	;; [unrolled: 1-line block ×4, first 2 shown]
	ds_write_b64 v192, v[52:53] offset:21000
	v_fmac_f32_e32 v4, 0x3e9e377a, v27
	v_fmac_f32_e32 v5, 0x3e9e377a, v26
	;; [unrolled: 1-line block ×4, first 2 shown]
	v_sub_f32_e32 v26, v13, v12
	v_sub_f32_e32 v27, v18, v19
	ds_write_b64 v192, v[2:3] offset:15000
	ds_write_b64 v192, v[0:1] offset:27000
	v_add_nc_u32_e32 v0, 0x2000, v192
	v_sub_f32_e32 v2, v15, v14
	v_sub_f32_e32 v3, v21, v22
	v_add_f32_e32 v26, v26, v27
	v_add_f32_e32 v1, v14, v22
	ds_write2_b64 v0, v[4:5], v[24:25] offset0:101 offset1:226
	v_add_f32_e32 v0, v12, v19
	v_add_f32_e32 v4, v11, v16
	;; [unrolled: 1-line block ×10, first 2 shown]
	v_fma_f32 v0, -0.5, v0, v62
	v_fma_f32 v1, -0.5, v1, v63
	;; [unrolled: 1-line block ×4, first 2 shown]
	v_sub_f32_e32 v4, v11, v8
	v_sub_f32_e32 v5, v16, v20
	;; [unrolled: 1-line block ×4, first 2 shown]
	v_fma_f32 v3, -0.5, v3, v65
	v_fmac_f32_e32 v65, -0.5, v24
	v_sub_f32_e32 v38, v10, v17
	v_sub_f32_e32 v39, v11, v16
	;; [unrolled: 1-line block ×4, first 2 shown]
	v_add_f32_e32 v12, v12, v13
	v_add_f32_e32 v13, v14, v15
	;; [unrolled: 1-line block ×6, first 2 shown]
	v_fmamk_f32 v4, v35, 0x3f737871, v0
	v_fmac_f32_e32 v0, 0xbf737871, v35
	v_fmamk_f32 v5, v36, 0xbf737871, v1
	v_fmac_f32_e32 v1, 0x3f737871, v36
	;; [unrolled: 2-line block ×4, first 2 shown]
	v_add_f32_e32 v14, v14, v16
	v_add_f32_e32 v15, v15, v17
	v_fmac_f32_e32 v6, 0x3f737871, v30
	v_fmac_f32_e32 v7, 0xbf737871, v31
	v_sub_f32_e32 v11, v8, v11
	v_sub_f32_e32 v16, v20, v16
	v_fmamk_f32 v8, v40, 0xbf737871, v2
	v_fmac_f32_e32 v2, 0x3f737871, v40
	v_sub_f32_e32 v10, v9, v10
	v_sub_f32_e32 v17, v23, v17
	v_fmamk_f32 v9, v41, 0x3f737871, v3
	v_fmac_f32_e32 v3, 0xbf737871, v41
	v_fmac_f32_e32 v0, 0x3f167918, v30
	;; [unrolled: 1-line block ×5, first 2 shown]
	v_add_f32_e32 v12, v12, v18
	v_add_f32_e32 v13, v13, v21
	v_fmac_f32_e32 v4, 0xbf167918, v30
	v_fmac_f32_e32 v5, 0x3f167918, v31
	;; [unrolled: 1-line block ×6, first 2 shown]
	v_add_f32_e32 v11, v11, v16
	v_add_f32_e32 v10, v10, v17
	v_fmac_f32_e32 v2, 0x3f167918, v38
	v_fmac_f32_e32 v3, 0xbf167918, v39
	;; [unrolled: 1-line block ×8, first 2 shown]
	v_add_f32_e32 v12, v12, v19
	v_add_f32_e32 v13, v13, v22
	v_add_f32_e32 v14, v14, v20
	v_add_f32_e32 v15, v15, v23
	v_fmac_f32_e32 v4, 0x3e9e377a, v26
	v_fmac_f32_e32 v5, 0x3e9e377a, v27
	;; [unrolled: 1-line block ×10, first 2 shown]
	ds_write2_b64 v193, v[0:1], v[64:65] offset0:62 offset1:187
	ds_write2_b64 v196, v[12:13], v[14:15] offset0:116 offset1:241
	;; [unrolled: 1-line block ×4, first 2 shown]
	ds_write_b64 v192, v[8:9] offset:11000
	s_waitcnt lgkmcnt(0)
	s_barrier
	buffer_gl0_inv
	ds_read2_b64 v[0:3], v192 offset1:125
	ds_read2_b64 v[4:7], v194 offset0:98 offset1:223
	s_clause 0x1
	buffer_load_dword v15, off, s[20:23], 0 offset:240
	buffer_load_dword v16, off, s[20:23], 0 offset:244
	ds_read2_b64 v[8:11], v209 offset0:68 offset1:193
	s_clause 0x1
	buffer_load_dword v13, off, s[20:23], 0 offset:232
	buffer_load_dword v14, off, s[20:23], 0 offset:236
	s_waitcnt vmcnt(2) lgkmcnt(2)
	v_mul_f32_e32 v20, v16, v1
	v_mul_f32_e32 v12, v16, v0
	s_waitcnt vmcnt(0)
	v_mul_f32_e32 v24, v14, v3
	v_mov_b32_e32 v26, v14
	v_mov_b32_e32 v25, v13
	v_fmac_f32_e32 v20, v15, v0
	v_fma_f32 v21, v15, v1, -v12
	v_fmac_f32_e32 v24, v13, v2
	ds_read2_b64 v[12:15], v195 offset0:122 offset1:247
	s_clause 0x1
	buffer_load_dword v16, off, s[20:23], 0 offset:216
	buffer_load_dword v17, off, s[20:23], 0 offset:220
	v_mul_f32_e32 v0, v26, v2
	v_fma_f32 v25, v25, v3, -v0
	s_waitcnt vmcnt(0) lgkmcnt(2)
	v_mul_f32_e32 v22, v17, v5
	v_mul_f32_e32 v1, v17, v4
	v_mov_b32_e32 v23, v16
	s_clause 0x1
	buffer_load_dword v16, off, s[20:23], 0 offset:224
	buffer_load_dword v17, off, s[20:23], 0 offset:228
	v_fmac_f32_e32 v22, v23, v4
	v_fma_f32 v23, v23, v5, -v1
	s_waitcnt vmcnt(0)
	v_mul_f32_e32 v27, v17, v7
	v_mul_f32_e32 v2, v17, v6
	v_mov_b32_e32 v26, v16
	ds_read2_b64 v[16:19], v223 offset0:92 offset1:217
	s_clause 0x1
	buffer_load_dword v0, off, s[20:23], 0 offset:176
	buffer_load_dword v1, off, s[20:23], 0 offset:180
	v_fmac_f32_e32 v27, v26, v6
	v_fma_f32 v28, v26, v7, -v2
	s_waitcnt vmcnt(0) lgkmcnt(2)
	v_mul_f32_e32 v26, v1, v9
	v_mul_f32_e32 v4, v1, v8
	v_mov_b32_e32 v6, v0
	s_clause 0x1
	buffer_load_dword v0, off, s[20:23], 0 offset:208
	buffer_load_dword v1, off, s[20:23], 0 offset:212
	v_fmac_f32_e32 v26, v6, v8
	v_fma_f32 v30, v6, v9, -v4
	s_waitcnt vmcnt(0)
	v_mul_f32_e32 v29, v1, v11
	v_mov_b32_e32 v32, v0
	v_mul_f32_e32 v5, v1, v10
	ds_read2_b64 v[0:3], v193 offset0:62 offset1:187
	s_clause 0x1
	buffer_load_dword v6, off, s[20:23], 0 offset:184
	buffer_load_dword v7, off, s[20:23], 0 offset:188
	v_fmac_f32_e32 v29, v32, v10
	s_clause 0x1
	buffer_load_dword v9, off, s[20:23], 0 offset:192
	buffer_load_dword v10, off, s[20:23], 0 offset:196
	v_fma_f32 v32, v32, v11, -v5
	s_waitcnt vmcnt(2) lgkmcnt(2)
	v_mul_f32_e32 v31, v7, v13
	v_mul_f32_e32 v4, v7, v12
	v_mov_b32_e32 v8, v6
	s_waitcnt vmcnt(0)
	v_mul_f32_e32 v5, v10, v14
	v_mul_f32_e32 v33, v10, v15
	v_fmac_f32_e32 v31, v6, v12
	s_clause 0x1
	buffer_load_dword v6, off, s[20:23], 0 offset:168
	buffer_load_dword v7, off, s[20:23], 0 offset:172
	v_fma_f32 v35, v8, v13, -v4
	v_fma_f32 v36, v9, v15, -v5
	s_clause 0x1
	buffer_load_dword v4, off, s[20:23], 0 offset:200
	buffer_load_dword v5, off, s[20:23], 0 offset:204
	v_fmac_f32_e32 v33, v9, v14
	v_cvt_f64_f32_e32 v[14:15], v22
	s_waitcnt vmcnt(2) lgkmcnt(1)
	v_mul_f32_e32 v34, v7, v17
	v_mul_f32_e32 v8, v7, v16
	v_mov_b32_e32 v10, v6
	s_waitcnt vmcnt(0)
	v_mul_f32_e32 v9, v5, v18
	v_mov_b32_e32 v12, v4
	v_fmac_f32_e32 v34, v6, v16
	v_mul_f32_e32 v37, v5, v19
	ds_read2_b64 v[4:7], v196 offset0:116 offset1:241
	v_fma_f32 v38, v10, v17, -v8
	s_clause 0x1
	buffer_load_dword v10, off, s[20:23], 0 offset:160
	buffer_load_dword v11, off, s[20:23], 0 offset:164
	v_fma_f32 v40, v12, v19, -v9
	s_clause 0x3
	buffer_load_dword v8, off, s[20:23], 0
	buffer_load_dword v9, off, s[20:23], 0 offset:4
	buffer_load_dword v44, off, s[20:23], 0 offset:152
	;; [unrolled: 1-line block ×3, first 2 shown]
	v_fmac_f32_e32 v37, v12, v18
	v_cvt_f64_f32_e32 v[12:13], v21
	v_cvt_f64_f32_e32 v[16:17], v23
	s_waitcnt vmcnt(4) lgkmcnt(1)
	v_mul_f32_e32 v39, v11, v1
	v_mul_f32_e32 v18, v11, v0
	s_waitcnt vmcnt(3)
	v_mov_b32_e32 v19, v8
	v_mov_b32_e32 v42, v10
	s_waitcnt vmcnt(0)
	v_mul_f32_e32 v41, v45, v3
	v_fmac_f32_e32 v39, v10, v0
	v_mul_f32_e32 v43, v45, v2
	v_mad_u64_u32 v[8:9], null, s2, v19, 0
	v_fma_f32 v42, v42, v1, -v18
	v_fmac_f32_e32 v41, v44, v2
	v_cvt_f64_f32_e32 v[10:11], v20
	v_mov_b32_e32 v48, v44
	v_cvt_f64_f32_e32 v[20:21], v30
	v_mov_b32_e32 v0, v9
	v_fma_f32 v30, v48, v3, -v43
	v_mad_u64_u32 v[0:1], null, s3, v19, v[0:1]
	s_clause 0x4
	buffer_load_dword v1, off, s[20:23], 0 offset:136
	buffer_load_dword v2, off, s[20:23], 0 offset:140
	;; [unrolled: 1-line block ×5, first 2 shown]
	v_cvt_f64_f32_e32 v[18:19], v26
	s_mov_b32 s2, 0x9cbd821e
	s_mov_b32 s3, 0x3f3179ec
	v_mov_b32_e32 v9, v0
	v_mul_f64 v[12:13], v[12:13], s[2:3]
	v_mul_f64 v[14:15], v[14:15], s[2:3]
	;; [unrolled: 1-line block ×3, first 2 shown]
	v_cvt_f64_f32_e32 v[25:26], v25
	v_mul_f64 v[10:11], v[10:11], s[2:3]
	s_waitcnt vmcnt(3) lgkmcnt(0)
	v_mul_f32_e32 v44, v2, v5
	v_mul_f32_e32 v45, v2, v4
	v_mov_b32_e32 v47, v1
	s_waitcnt vmcnt(2)
	v_mad_u64_u32 v[1:2], null, s0, v22, 0
	s_waitcnt vmcnt(0)
	v_mul_f32_e32 v46, v50, v7
	v_fmac_f32_e32 v44, v47, v4
	v_fma_f32 v43, v47, v5, -v45
	v_mov_b32_e32 v47, v49
	v_mov_b32_e32 v48, v50
	v_mov_b32_e32 v0, v2
	v_lshlrev_b64 v[3:4], 3, v[8:9]
	v_mul_f64 v[8:9], v[20:21], s[2:3]
	v_fmac_f32_e32 v46, v47, v6
	v_mul_f32_e32 v45, v48, v6
	v_mad_u64_u32 v[22:23], null, s1, v22, v[0:1]
	v_cvt_f64_f32_e32 v[23:24], v24
	v_mul_f64 v[5:6], v[18:19], s[2:3]
	v_mov_b32_e32 v48, v47
	v_add_co_u32 v47, vcc_lo, s4, v3
	v_cvt_f32_f64_e32 v3, v[12:13]
	v_mov_b32_e32 v2, v22
	v_cvt_f64_f32_e32 v[18:19], v28
	v_cvt_f64_f32_e32 v[20:21], v29
	v_add_co_ci_u32_e32 v4, vcc_lo, s5, v4, vcc_lo
	v_lshlrev_b64 v[0:1], 3, v[1:2]
	v_cvt_f32_f64_e32 v2, v[10:11]
	v_cvt_f32_f64_e32 v10, v[14:15]
	;; [unrolled: 1-line block ×3, first 2 shown]
	v_mul_f64 v[14:15], v[25:26], s[2:3]
	v_cvt_f64_f32_e32 v[16:17], v27
	v_add_co_u32 v0, vcc_lo, v47, v0
	s_mul_i32 s4, s1, 0x2710
	s_mul_hi_u32 s5, s0, 0x2710
	v_add_co_ci_u32_e32 v1, vcc_lo, v4, v1, vcc_lo
	v_mul_f64 v[12:13], v[23:24], s[2:3]
	v_cvt_f64_f32_e32 v[22:23], v32
	v_cvt_f32_f64_e32 v4, v[5:6]
	v_cvt_f32_f64_e32 v5, v[8:9]
	v_cvt_f64_f32_e32 v[8:9], v31
	v_cvt_f64_f32_e32 v[24:25], v35
	v_fma_f32 v35, v48, v7, -v45
	v_cvt_f64_f32_e32 v[6:7], v34
	v_cvt_f64_f32_e32 v[28:29], v38
	s_add_i32 s4, s5, s4
	s_mul_i32 s5, s0, 0x2710
	s_mulk_i32 s1, 0xb5c8
	v_add_co_u32 v26, vcc_lo, v0, s5
	v_add_co_ci_u32_e32 v27, vcc_lo, s4, v1, vcc_lo
	global_store_dwordx2 v[0:1], v[2:3], off
	global_store_dwordx2 v[26:27], v[10:11], off
	v_cvt_f32_f64_e32 v1, v[14:15]
	v_mul_f64 v[2:3], v[16:17], s[2:3]
	v_mul_f64 v[10:11], v[18:19], s[2:3]
	v_cvt_f32_f64_e32 v0, v[12:13]
	v_mul_f64 v[12:13], v[20:21], s[2:3]
	v_mul_f64 v[14:15], v[22:23], s[2:3]
	v_add_co_u32 v16, vcc_lo, v26, s5
	v_add_co_ci_u32_e32 v17, vcc_lo, s4, v27, vcc_lo
	v_mul_f64 v[8:9], v[8:9], s[2:3]
	v_mul_f64 v[18:19], v[24:25], s[2:3]
	s_mulk_i32 s0, 0xb5c8
	global_store_dwordx2 v[16:17], v[4:5], off
	v_mul_f64 v[4:5], v[6:7], s[2:3]
	v_mul_f64 v[6:7], v[28:29], s[2:3]
	s_add_i32 s1, s6, s1
	v_add_co_u32 v16, vcc_lo, v16, s0
	v_add_co_ci_u32_e32 v17, vcc_lo, s1, v17, vcc_lo
	v_cvt_f64_f32_e32 v[22:23], v42
	v_cvt_f64_f32_e32 v[26:27], v44
	v_cvt_f32_f64_e32 v2, v[2:3]
	v_cvt_f32_f64_e32 v3, v[10:11]
	global_store_dwordx2 v[16:17], v[0:1], off
	v_cvt_f32_f64_e32 v10, v[12:13]
	v_cvt_f32_f64_e32 v11, v[14:15]
	v_add_co_u32 v0, vcc_lo, v16, s5
	v_add_co_ci_u32_e32 v1, vcc_lo, s4, v17, vcc_lo
	v_cvt_f32_f64_e32 v8, v[8:9]
	v_cvt_f32_f64_e32 v9, v[18:19]
	v_add_co_u32 v14, vcc_lo, v0, s5
	v_cvt_f32_f64_e32 v4, v[4:5]
	v_cvt_f32_f64_e32 v5, v[6:7]
	v_add_co_ci_u32_e32 v15, vcc_lo, s4, v1, vcc_lo
	v_cvt_f64_f32_e32 v[18:19], v40
	v_cvt_f64_f32_e32 v[6:7], v37
	;; [unrolled: 1-line block ×3, first 2 shown]
	v_mul_f64 v[22:23], v[22:23], s[2:3]
	v_cvt_f64_f32_e32 v[20:21], v39
	v_cvt_f64_f32_e32 v[16:17], v36
	global_store_dwordx2 v[0:1], v[2:3], off
	ds_read2_b64 v[0:3], v224 offset0:86 offset1:211
	v_cvt_f64_f32_e32 v[24:25], v41
	global_store_dwordx2 v[14:15], v[10:11], off
	v_add_co_u32 v14, vcc_lo, v14, s0
	v_add_co_ci_u32_e32 v15, vcc_lo, s1, v15, vcc_lo
	v_cvt_f64_f32_e32 v[10:11], v30
	v_add_co_u32 v30, vcc_lo, v14, s5
	v_add_co_ci_u32_e32 v31, vcc_lo, s4, v15, vcc_lo
	global_store_dwordx2 v[14:15], v[8:9], off
	v_cvt_f64_f32_e32 v[28:29], v43
	global_store_dwordx2 v[30:31], v[4:5], off
	s_clause 0x1
	buffer_load_dword v4, off, s[20:23], 0 offset:120
	buffer_load_dword v5, off, s[20:23], 0 offset:124
	v_mul_f64 v[14:15], v[18:19], s[2:3]
	v_cvt_f32_f64_e32 v19, v[22:23]
	v_mul_f64 v[22:23], v[26:27], s[2:3]
	v_add_co_u32 v26, vcc_lo, v30, s5
	v_mul_f64 v[8:9], v[6:7], s[2:3]
	v_add_co_ci_u32_e32 v27, vcc_lo, s4, v31, vcc_lo
	v_mul_f64 v[20:21], v[20:21], s[2:3]
	v_mul_f64 v[12:13], v[12:13], s[2:3]
	;; [unrolled: 1-line block ×4, first 2 shown]
	v_cvt_f32_f64_e32 v8, v[8:9]
	v_cvt_f32_f64_e32 v9, v[14:15]
	v_add_co_u32 v14, vcc_lo, v26, s0
	v_cvt_f32_f64_e32 v18, v[20:21]
	v_mul_f64 v[20:21], v[24:25], s[2:3]
	v_mul_f64 v[24:25], v[28:29], s[2:3]
	v_cvt_f32_f64_e32 v12, v[12:13]
	v_cvt_f32_f64_e32 v13, v[16:17]
	v_add_co_ci_u32_e32 v15, vcc_lo, s1, v27, vcc_lo
	v_cvt_f32_f64_e32 v20, v[20:21]
	v_cvt_f32_f64_e32 v21, v[10:11]
	;; [unrolled: 1-line block ×4, first 2 shown]
	v_add_co_u32 v22, vcc_lo, v14, s5
	v_add_co_ci_u32_e32 v23, vcc_lo, s4, v15, vcc_lo
	v_add_co_u32 v42, vcc_lo, v22, s5
	v_add_co_ci_u32_e32 v43, vcc_lo, s4, v23, vcc_lo
	s_waitcnt vmcnt(0) lgkmcnt(0)
	v_mul_f32_e32 v32, v5, v1
	v_mul_f32_e32 v33, v5, v0
	v_mov_b32_e32 v34, v4
	ds_read2_b64 v[4:7], v124 offset0:56 offset1:181
	s_clause 0x1
	buffer_load_dword v30, off, s[20:23], 0 offset:104
	buffer_load_dword v31, off, s[20:23], 0 offset:108
	v_fma_f32 v28, v34, v1, -v33
	v_fmac_f32_e32 v32, v34, v0
	v_cvt_f64_f32_e32 v[34:35], v35
	v_cvt_f64_f32_e32 v[16:17], v28
	;; [unrolled: 1-line block ×4, first 2 shown]
	v_add_co_u32 v46, vcc_lo, v42, s0
	v_add_co_ci_u32_e32 v47, vcc_lo, s1, v43, vcc_lo
	v_mul_f64 v[16:17], v[16:17], s[2:3]
	v_mul_f64 v[24:25], v[0:1], s[2:3]
	s_waitcnt vmcnt(0) lgkmcnt(0)
	v_mul_f32_e32 v28, v31, v5
	v_mul_f32_e32 v29, v31, v4
	v_fmac_f32_e32 v28, v30, v4
	v_fma_f32 v4, v30, v5, -v29
	s_clause 0x3
	buffer_load_dword v30, off, s[20:23], 0 offset:112
	buffer_load_dword v31, off, s[20:23], 0 offset:116
	;; [unrolled: 1-line block ×4, first 2 shown]
	s_waitcnt vmcnt(2)
	v_mul_f32_e32 v5, v31, v3
	v_mul_f32_e32 v29, v31, v2
	s_waitcnt vmcnt(0)
	v_mul_f32_e32 v0, v37, v7
	v_fmac_f32_e32 v5, v30, v2
	v_fma_f32 v1, v30, v3, -v29
	v_mul_f32_e32 v2, v37, v6
	v_mov_b32_e32 v3, v36
	v_cvt_f64_f32_e32 v[30:31], v4
	v_fmac_f32_e32 v0, v36, v6
	v_cvt_f64_f32_e32 v[36:37], v5
	v_cvt_f64_f32_e32 v[38:39], v1
	v_fma_f32 v4, v3, v7, -v2
	v_cvt_f64_f32_e32 v[28:29], v28
	v_cvt_f64_f32_e32 v[40:41], v0
	ds_read2_b64 v[0:3], v104 offset0:110 offset1:235
	v_cvt_f64_f32_e32 v[44:45], v4
	ds_read2_b64 v[4:7], v210 offset0:80 offset1:205
	global_store_dwordx2 v[26:27], v[18:19], off
	global_store_dwordx2 v[14:15], v[12:13], off
	global_store_dwordx2 v[22:23], v[8:9], off
	global_store_dwordx2 v[42:43], v[20:21], off
	global_store_dwordx2 v[46:47], v[10:11], off
	s_clause 0x1
	buffer_load_dword v9, off, s[20:23], 0 offset:96
	buffer_load_dword v10, off, s[20:23], 0 offset:100
	v_mul_f64 v[18:19], v[32:33], s[2:3]
	v_mul_f64 v[20:21], v[34:35], s[2:3]
	s_clause 0x1
	buffer_load_dword v33, off, s[20:23], 0 offset:88
	buffer_load_dword v34, off, s[20:23], 0 offset:92
	v_cvt_f32_f64_e32 v13, v[16:17]
	v_cvt_f32_f64_e32 v12, v[24:25]
	v_mul_f64 v[16:17], v[30:31], s[2:3]
	v_mul_f64 v[22:23], v[36:37], s[2:3]
	;; [unrolled: 1-line block ×6, first 2 shown]
	v_cvt_f32_f64_e32 v18, v[18:19]
	v_cvt_f32_f64_e32 v19, v[20:21]
	;; [unrolled: 1-line block ×8, first 2 shown]
	s_waitcnt vmcnt(2) lgkmcnt(1)
	v_mul_f32_e32 v8, v10, v1
	s_waitcnt vmcnt(0) lgkmcnt(0)
	v_mul_f32_e32 v32, v34, v5
	v_fmac_f32_e32 v8, v9, v0
	v_mul_f32_e32 v0, v10, v0
	v_mov_b32_e32 v10, v9
	v_mul_f32_e32 v9, v34, v4
	v_fmac_f32_e32 v32, v33, v4
	v_cvt_f64_f32_e32 v[30:31], v8
	v_fma_f32 v8, v10, v1, -v0
	v_fma_f32 v34, v33, v5, -v9
	v_add_co_u32 v0, vcc_lo, v46, s5
	v_add_co_ci_u32_e32 v1, vcc_lo, s4, v47, vcc_lo
	v_cvt_f64_f32_e32 v[4:5], v8
	ds_read2_b64 v[8:11], v105 offset0:50 offset1:175
	s_clause 0x1
	buffer_load_dword v38, off, s[20:23], 0 offset:80
	buffer_load_dword v39, off, s[20:23], 0 offset:84
	v_cvt_f64_f32_e32 v[34:35], v34
	v_add_co_u32 v16, vcc_lo, v0, s5
	v_add_co_ci_u32_e32 v17, vcc_lo, s4, v1, vcc_lo
	v_cvt_f64_f32_e32 v[32:33], v32
	v_add_co_u32 v20, vcc_lo, v16, s0
	v_add_co_ci_u32_e32 v21, vcc_lo, s1, v17, vcc_lo
	v_mul_f64 v[26:27], v[30:31], s[2:3]
	v_mul_f64 v[4:5], v[4:5], s[2:3]
	;; [unrolled: 1-line block ×4, first 2 shown]
	s_waitcnt vmcnt(0) lgkmcnt(0)
	v_mul_f32_e32 v36, v39, v9
	v_mul_f32_e32 v37, v39, v8
	s_clause 0x1
	buffer_load_dword v39, off, s[20:23], 0 offset:72
	buffer_load_dword v40, off, s[20:23], 0 offset:76
	v_fmac_f32_e32 v36, v38, v8
	v_fma_f32 v34, v38, v9, -v37
	v_add_co_u32 v8, vcc_lo, v20, s5
	v_add_co_ci_u32_e32 v9, vcc_lo, s4, v21, vcc_lo
	v_cvt_f64_f32_e32 v[32:33], v36
	v_cvt_f64_f32_e32 v[34:35], v34
	s_waitcnt vmcnt(0)
	v_mul_f32_e32 v37, v40, v3
	v_mul_f32_e32 v38, v40, v2
	v_fmac_f32_e32 v37, v39, v2
	v_add_co_u32 v2, vcc_lo, v8, s5
	v_fma_f32 v38, v39, v3, -v38
	v_add_co_ci_u32_e32 v3, vcc_lo, s4, v9, vcc_lo
	global_store_dwordx2 v[0:1], v[12:13], off
	global_store_dwordx2 v[16:17], v[14:15], off
	;; [unrolled: 1-line block ×5, first 2 shown]
	s_clause 0x1
	buffer_load_dword v0, off, s[20:23], 0 offset:64
	buffer_load_dword v1, off, s[20:23], 0 offset:68
	v_cvt_f32_f64_e32 v9, v[4:5]
	v_cvt_f32_f64_e32 v4, v[28:29]
	;; [unrolled: 1-line block ×4, first 2 shown]
	v_add_co_u32 v12, vcc_lo, v2, s0
	v_add_co_ci_u32_e32 v13, vcc_lo, s1, v3, vcc_lo
	v_mul_f64 v[14:15], v[32:33], s[2:3]
	v_add_co_u32 v18, vcc_lo, v12, s5
	v_add_co_ci_u32_e32 v19, vcc_lo, s4, v13, vcc_lo
	v_cvt_f64_f32_e32 v[36:37], v37
	v_cvt_f64_f32_e32 v[38:39], v38
	v_mul_f64 v[16:17], v[34:35], s[2:3]
	v_cvt_f32_f64_e32 v14, v[14:15]
	v_mul_f64 v[20:21], v[36:37], s[2:3]
	v_mul_f64 v[22:23], v[38:39], s[2:3]
	v_cvt_f32_f64_e32 v15, v[16:17]
	v_add_co_u32 v16, vcc_lo, v18, s5
	v_add_co_ci_u32_e32 v17, vcc_lo, s4, v19, vcc_lo
	s_waitcnt vmcnt(0)
	v_mul_f32_e32 v24, v1, v7
	v_mov_b32_e32 v28, v0
	v_fmac_f32_e32 v24, v0, v6
	v_mul_f32_e32 v6, v1, v6
	s_clause 0x1
	buffer_load_dword v0, off, s[20:23], 0 offset:56
	buffer_load_dword v1, off, s[20:23], 0 offset:60
	v_cvt_f64_f32_e32 v[24:25], v24
	v_fma_f32 v6, v28, v7, -v6
	s_waitcnt vmcnt(0)
	v_mul_f32_e32 v27, v1, v10
	v_mov_b32_e32 v29, v0
	v_mul_f32_e32 v26, v1, v11
	ds_read2_b64 v[0:3], v123 offset0:104 offset1:229
	global_store_dwordx2 v[12:13], v[8:9], off
	global_store_dwordx2 v[18:19], v[4:5], off
	v_cvt_f64_f32_e32 v[12:13], v6
	v_fma_f32 v7, v29, v11, -v27
	v_fmac_f32_e32 v26, v29, v10
	v_cvt_f32_f64_e32 v19, v[22:23]
	v_mul_f64 v[22:23], v[24:25], s[2:3]
	v_cvt_f32_f64_e32 v18, v[20:21]
	v_cvt_f64_f32_e32 v[28:29], v7
	ds_read2_b64 v[4:7], v122 offset0:74 offset1:199
	ds_read2_b64 v[8:11], v127 offset0:44 offset1:169
	s_clause 0x1
	buffer_load_dword v32, off, s[20:23], 0 offset:48
	buffer_load_dword v33, off, s[20:23], 0 offset:52
	v_cvt_f64_f32_e32 v[26:27], v26
	v_add_co_u32 v20, vcc_lo, v16, s0
	v_add_co_ci_u32_e32 v21, vcc_lo, s1, v17, vcc_lo
	v_mul_f64 v[24:25], v[28:29], s[2:3]
	s_waitcnt vmcnt(0) lgkmcnt(2)
	v_mul_f32_e32 v30, v33, v1
	v_mul_f32_e32 v31, v33, v0
	v_fmac_f32_e32 v30, v32, v0
	v_fma_f32 v31, v32, v1, -v31
	s_clause 0x3
	buffer_load_dword v32, off, s[20:23], 0 offset:40
	buffer_load_dword v33, off, s[20:23], 0 offset:44
	;; [unrolled: 1-line block ×4, first 2 shown]
	v_mul_f64 v[0:1], v[12:13], s[2:3]
	v_mul_f64 v[12:13], v[26:27], s[2:3]
	v_cvt_f64_f32_e32 v[26:27], v30
	v_cvt_f64_f32_e32 v[28:29], v31
	v_cvt_f32_f64_e32 v12, v[12:13]
	v_cvt_f32_f64_e32 v13, v[24:25]
	s_waitcnt vmcnt(2) lgkmcnt(1)
	v_mul_f32_e32 v30, v33, v5
	v_mul_f32_e32 v31, v33, v4
	v_mov_b32_e32 v35, v32
	s_waitcnt vmcnt(0) lgkmcnt(0)
	v_mul_f32_e32 v32, v37, v9
	v_mul_f32_e32 v33, v37, v8
	v_mov_b32_e32 v38, v36
	s_clause 0x1
	buffer_load_dword v36, off, s[20:23], 0 offset:24
	buffer_load_dword v37, off, s[20:23], 0 offset:28
	v_fmac_f32_e32 v30, v35, v4
	v_fma_f32 v31, v35, v5, -v31
	v_fmac_f32_e32 v32, v38, v8
	v_fma_f32 v33, v38, v9, -v33
	s_clause 0x3
	buffer_load_dword v38, off, s[20:23], 0 offset:16
	buffer_load_dword v39, off, s[20:23], 0 offset:20
	;; [unrolled: 1-line block ×4, first 2 shown]
	v_cvt_f64_f32_e32 v[4:5], v30
	v_cvt_f64_f32_e32 v[8:9], v31
	;; [unrolled: 1-line block ×4, first 2 shown]
	global_store_dwordx2 v[16:17], v[14:15], off
	global_store_dwordx2 v[20:21], v[18:19], off
	v_cvt_f32_f64_e32 v15, v[0:1]
	v_mul_f64 v[0:1], v[26:27], s[2:3]
	v_mul_f64 v[16:17], v[28:29], s[2:3]
	v_add_co_u32 v18, vcc_lo, v20, s5
	v_cvt_f32_f64_e32 v14, v[22:23]
	v_add_co_ci_u32_e32 v19, vcc_lo, s4, v21, vcc_lo
	v_mul_f64 v[4:5], v[4:5], s[2:3]
	v_mul_f64 v[8:9], v[8:9], s[2:3]
	;; [unrolled: 1-line block ×4, first 2 shown]
	v_add_co_u32 v30, vcc_lo, v18, s5
	v_add_co_ci_u32_e32 v31, vcc_lo, s4, v19, vcc_lo
	v_cvt_f32_f64_e32 v0, v[0:1]
	v_cvt_f32_f64_e32 v1, v[16:17]
	v_add_co_u32 v16, vcc_lo, v30, s0
	v_add_co_ci_u32_e32 v17, vcc_lo, s1, v31, vcc_lo
	global_store_dwordx2 v[18:19], v[14:15], off
	global_store_dwordx2 v[30:31], v[12:13], off
	v_cvt_f32_f64_e32 v4, v[4:5]
	v_cvt_f32_f64_e32 v5, v[8:9]
	v_add_co_u32 v8, vcc_lo, v16, s5
	v_add_co_ci_u32_e32 v9, vcc_lo, s4, v17, vcc_lo
	v_cvt_f32_f64_e32 v20, v[20:21]
	v_cvt_f32_f64_e32 v21, v[22:23]
	global_store_dwordx2 v[16:17], v[0:1], off
	s_waitcnt vmcnt(4)
	v_mul_f32_e32 v34, v37, v3
	v_mov_b32_e32 v40, v36
	v_fmac_f32_e32 v34, v36, v2
	v_mul_f32_e32 v2, v37, v2
	s_waitcnt vmcnt(2)
	v_mul_f32_e32 v36, v39, v7
	v_mul_f32_e32 v37, v39, v6
	v_mov_b32_e32 v41, v38
	s_waitcnt vmcnt(0)
	v_mul_f32_e32 v38, v43, v11
	v_mul_f32_e32 v39, v43, v10
	v_fma_f32 v2, v40, v3, -v2
	v_cvt_f64_f32_e32 v[34:35], v34
	v_fmac_f32_e32 v36, v41, v6
	v_fma_f32 v37, v41, v7, -v37
	v_fmac_f32_e32 v38, v42, v10
	v_fma_f32 v39, v42, v11, -v39
	v_cvt_f64_f32_e32 v[2:3], v2
	v_cvt_f64_f32_e32 v[6:7], v36
	;; [unrolled: 1-line block ×5, first 2 shown]
	v_mul_f64 v[24:25], v[34:35], s[2:3]
	v_mul_f64 v[2:3], v[2:3], s[2:3]
	;; [unrolled: 1-line block ×6, first 2 shown]
	v_cvt_f32_f64_e32 v22, v[24:25]
	v_cvt_f32_f64_e32 v23, v[2:3]
	;; [unrolled: 1-line block ×6, first 2 shown]
	v_add_co_u32 v10, vcc_lo, v8, s5
	v_add_co_ci_u32_e32 v11, vcc_lo, s4, v9, vcc_lo
	v_add_co_u32 v14, vcc_lo, v10, s0
	v_add_co_ci_u32_e32 v15, vcc_lo, s1, v11, vcc_lo
	;; [unrolled: 2-line block ×4, first 2 shown]
	global_store_dwordx2 v[8:9], v[4:5], off
	global_store_dwordx2 v[10:11], v[20:21], off
	;; [unrolled: 1-line block ×5, first 2 shown]
.LBB0_2:
	s_endpgm
	.section	.rodata,"a",@progbits
	.p2align	6, 0x0
	.amdhsa_kernel bluestein_single_back_len3750_dim1_sp_op_CI_CI
		.amdhsa_group_segment_fixed_size 30000
		.amdhsa_private_segment_fixed_size 572
		.amdhsa_kernarg_size 104
		.amdhsa_user_sgpr_count 6
		.amdhsa_user_sgpr_private_segment_buffer 1
		.amdhsa_user_sgpr_dispatch_ptr 0
		.amdhsa_user_sgpr_queue_ptr 0
		.amdhsa_user_sgpr_kernarg_segment_ptr 1
		.amdhsa_user_sgpr_dispatch_id 0
		.amdhsa_user_sgpr_flat_scratch_init 0
		.amdhsa_user_sgpr_private_segment_size 0
		.amdhsa_wavefront_size32 1
		.amdhsa_uses_dynamic_stack 0
		.amdhsa_system_sgpr_private_segment_wavefront_offset 1
		.amdhsa_system_sgpr_workgroup_id_x 1
		.amdhsa_system_sgpr_workgroup_id_y 0
		.amdhsa_system_sgpr_workgroup_id_z 0
		.amdhsa_system_sgpr_workgroup_info 0
		.amdhsa_system_vgpr_workitem_id 0
		.amdhsa_next_free_vgpr 256
		.amdhsa_next_free_sgpr 24
		.amdhsa_reserve_vcc 1
		.amdhsa_reserve_flat_scratch 0
		.amdhsa_float_round_mode_32 0
		.amdhsa_float_round_mode_16_64 0
		.amdhsa_float_denorm_mode_32 3
		.amdhsa_float_denorm_mode_16_64 3
		.amdhsa_dx10_clamp 1
		.amdhsa_ieee_mode 1
		.amdhsa_fp16_overflow 0
		.amdhsa_workgroup_processor_mode 1
		.amdhsa_memory_ordered 1
		.amdhsa_forward_progress 0
		.amdhsa_shared_vgpr_count 0
		.amdhsa_exception_fp_ieee_invalid_op 0
		.amdhsa_exception_fp_denorm_src 0
		.amdhsa_exception_fp_ieee_div_zero 0
		.amdhsa_exception_fp_ieee_overflow 0
		.amdhsa_exception_fp_ieee_underflow 0
		.amdhsa_exception_fp_ieee_inexact 0
		.amdhsa_exception_int_div_zero 0
	.end_amdhsa_kernel
	.text
.Lfunc_end0:
	.size	bluestein_single_back_len3750_dim1_sp_op_CI_CI, .Lfunc_end0-bluestein_single_back_len3750_dim1_sp_op_CI_CI
                                        ; -- End function
	.section	.AMDGPU.csdata,"",@progbits
; Kernel info:
; codeLenInByte = 37988
; NumSgprs: 26
; NumVgprs: 256
; ScratchSize: 572
; MemoryBound: 0
; FloatMode: 240
; IeeeMode: 1
; LDSByteSize: 30000 bytes/workgroup (compile time only)
; SGPRBlocks: 3
; VGPRBlocks: 31
; NumSGPRsForWavesPerEU: 26
; NumVGPRsForWavesPerEU: 256
; Occupancy: 4
; WaveLimiterHint : 1
; COMPUTE_PGM_RSRC2:SCRATCH_EN: 1
; COMPUTE_PGM_RSRC2:USER_SGPR: 6
; COMPUTE_PGM_RSRC2:TRAP_HANDLER: 0
; COMPUTE_PGM_RSRC2:TGID_X_EN: 1
; COMPUTE_PGM_RSRC2:TGID_Y_EN: 0
; COMPUTE_PGM_RSRC2:TGID_Z_EN: 0
; COMPUTE_PGM_RSRC2:TIDIG_COMP_CNT: 0
	.text
	.p2alignl 6, 3214868480
	.fill 48, 4, 3214868480
	.type	__hip_cuid_b432dcaaff1c8f3f,@object ; @__hip_cuid_b432dcaaff1c8f3f
	.section	.bss,"aw",@nobits
	.globl	__hip_cuid_b432dcaaff1c8f3f
__hip_cuid_b432dcaaff1c8f3f:
	.byte	0                               ; 0x0
	.size	__hip_cuid_b432dcaaff1c8f3f, 1

	.ident	"AMD clang version 19.0.0git (https://github.com/RadeonOpenCompute/llvm-project roc-6.4.0 25133 c7fe45cf4b819c5991fe208aaa96edf142730f1d)"
	.section	".note.GNU-stack","",@progbits
	.addrsig
	.addrsig_sym __hip_cuid_b432dcaaff1c8f3f
	.amdgpu_metadata
---
amdhsa.kernels:
  - .args:
      - .actual_access:  read_only
        .address_space:  global
        .offset:         0
        .size:           8
        .value_kind:     global_buffer
      - .actual_access:  read_only
        .address_space:  global
        .offset:         8
        .size:           8
        .value_kind:     global_buffer
      - .actual_access:  read_only
        .address_space:  global
        .offset:         16
        .size:           8
        .value_kind:     global_buffer
      - .actual_access:  read_only
        .address_space:  global
        .offset:         24
        .size:           8
        .value_kind:     global_buffer
      - .actual_access:  read_only
        .address_space:  global
        .offset:         32
        .size:           8
        .value_kind:     global_buffer
      - .offset:         40
        .size:           8
        .value_kind:     by_value
      - .address_space:  global
        .offset:         48
        .size:           8
        .value_kind:     global_buffer
      - .address_space:  global
        .offset:         56
        .size:           8
        .value_kind:     global_buffer
      - .address_space:  global
        .offset:         64
        .size:           8
        .value_kind:     global_buffer
      - .address_space:  global
        .offset:         72
        .size:           8
        .value_kind:     global_buffer
      - .offset:         80
        .size:           4
        .value_kind:     by_value
      - .address_space:  global
        .offset:         88
        .size:           8
        .value_kind:     global_buffer
      - .address_space:  global
        .offset:         96
        .size:           8
        .value_kind:     global_buffer
    .group_segment_fixed_size: 30000
    .kernarg_segment_align: 8
    .kernarg_segment_size: 104
    .language:       OpenCL C
    .language_version:
      - 2
      - 0
    .max_flat_workgroup_size: 125
    .name:           bluestein_single_back_len3750_dim1_sp_op_CI_CI
    .private_segment_fixed_size: 572
    .sgpr_count:     26
    .sgpr_spill_count: 0
    .symbol:         bluestein_single_back_len3750_dim1_sp_op_CI_CI.kd
    .uniform_work_group_size: 1
    .uses_dynamic_stack: false
    .vgpr_count:     256
    .vgpr_spill_count: 142
    .wavefront_size: 32
    .workgroup_processor_mode: 1
amdhsa.target:   amdgcn-amd-amdhsa--gfx1030
amdhsa.version:
  - 1
  - 2
...

	.end_amdgpu_metadata
